;; amdgpu-corpus repo=zjin-lcf/HeCBench kind=compiled arch=gfx906 opt=O3
	.amdgcn_target "amdgcn-amd-amdhsa--gfx906"
	.amdhsa_code_object_version 6
	.section	.text._Z13gqsort_kernelIjEvPT_S1_P12block_recordIS0_EP13parent_recordP11work_recordIS0_E,"axG",@progbits,_Z13gqsort_kernelIjEvPT_S1_P12block_recordIS0_EP13parent_recordP11work_recordIS0_E,comdat
	.protected	_Z13gqsort_kernelIjEvPT_S1_P12block_recordIS0_EP13parent_recordP11work_recordIS0_E ; -- Begin function _Z13gqsort_kernelIjEvPT_S1_P12block_recordIS0_EP13parent_recordP11work_recordIS0_E
	.globl	_Z13gqsort_kernelIjEvPT_S1_P12block_recordIS0_EP13parent_recordP11work_recordIS0_E
	.p2align	8
	.type	_Z13gqsort_kernelIjEvPT_S1_P12block_recordIS0_EP13parent_recordP11work_recordIS0_E,@function
_Z13gqsort_kernelIjEvPT_S1_P12block_recordIS0_EP13parent_recordP11work_recordIS0_E: ; @_Z13gqsort_kernelIjEvPT_S1_P12block_recordIS0_EP13parent_recordP11work_recordIS0_E
; %bb.0:
	s_load_dwordx8 s[16:23], s[4:5], 0x0
	s_mul_i32 s0, s6, 20
	s_mul_hi_u32 s1, s6, 20
	v_lshlrev_b32_e32 v4, 2, v0
	v_mov_b32_e32 v5, 0
	s_waitcnt lgkmcnt(0)
	s_add_u32 s0, s20, s0
	s_addc_u32 s1, s21, s1
	s_load_dwordx4 s[24:27], s[0:1], 0x0
	s_load_dwordx2 s[20:21], s[4:5], 0x20
	s_load_dword s34, s[0:1], 0x10
	v_mov_b32_e32 v6, 0
	ds_write2_b32 v4, v5, v5 offset1:132
	s_waitcnt lgkmcnt(0)
	s_cmp_eq_u32 s27, 1
	s_cselect_b64 s[28:29], -1, 0
	s_and_b64 s[0:1], s[28:29], exec
	v_add_u32_e32 v1, s24, v0
	s_cselect_b32 s33, s17, s19
	s_cselect_b32 s7, s16, s18
	v_cmp_gt_u32_e32 vcc, s25, v1
	s_barrier
	s_and_saveexec_b64 s[2:3], vcc
	s_cbranch_execz .LBB0_4
; %bb.1:
	v_mov_b32_e32 v3, 0
	s_mov_b64 s[4:5], 0
	v_mov_b32_e32 v7, s33
	v_mov_b32_e32 v2, v1
	;; [unrolled: 1-line block ×4, first 2 shown]
.LBB0_2:                                ; =>This Inner Loop Header: Depth=1
	v_lshlrev_b64 v[8:9], 2, v[2:3]
	v_add_u32_e32 v2, 0x80, v2
	v_add_co_u32_e64 v8, s[0:1], s7, v8
	v_addc_co_u32_e64 v9, s[0:1], v7, v9, s[0:1]
	global_load_dword v8, v[8:9], off
	v_cmp_le_u32_e64 s[0:1], s25, v2
	s_or_b64 s[4:5], s[0:1], s[4:5]
	s_waitcnt vmcnt(0)
	v_cmp_gt_u32_e64 s[0:1], s26, v8
	v_addc_co_u32_e64 v5, s[0:1], 0, v5, s[0:1]
	v_cmp_lt_u32_e64 s[0:1], s26, v8
	v_addc_co_u32_e64 v6, s[0:1], 0, v6, s[0:1]
	s_andn2_b64 exec, exec, s[4:5]
	s_cbranch_execnz .LBB0_2
; %bb.3:
	s_or_b64 exec, exec, s[4:5]
.LBB0_4:
	s_or_b64 exec, exec, s[2:3]
	v_add_u32_e32 v3, 0x210, v4
	v_and_b32_e32 v2, 1, v0
	ds_write_b32 v3, v5
	ds_write_b32 v4, v6
	v_cmp_eq_u32_e64 s[0:1], 1, v2
	v_add_u32_e32 v2, -4, v3
	v_add_u32_e32 v5, -4, v4
	s_waitcnt lgkmcnt(0)
	s_barrier
	s_and_saveexec_b64 s[2:3], s[0:1]
	s_cbranch_execz .LBB0_6
; %bb.5:
	ds_read2_b32 v[6:7], v2 offset1:1
	ds_read2_b32 v[8:9], v5 offset1:1
	s_waitcnt lgkmcnt(1)
	v_add_u32_e32 v6, v7, v6
	s_waitcnt lgkmcnt(0)
	v_add_u32_e32 v7, v9, v8
	ds_write_b32 v3, v6
	ds_write_b32 v4, v7
.LBB0_6:
	s_or_b64 exec, exec, s[2:3]
	v_and_b32_e32 v6, 3, v0
	v_cmp_eq_u32_e64 s[2:3], 3, v6
	v_add_u32_e32 v7, -8, v3
	v_add_u32_e32 v6, -8, v4
	s_waitcnt lgkmcnt(0)
	s_barrier
	s_and_saveexec_b64 s[4:5], s[2:3]
	s_cbranch_execz .LBB0_8
; %bb.7:
	ds_read_b32 v8, v7
	ds_read_b32 v9, v6
	;; [unrolled: 1-line block ×4, first 2 shown]
	s_waitcnt lgkmcnt(1)
	v_add_u32_e32 v8, v10, v8
	s_waitcnt lgkmcnt(0)
	v_add_u32_e32 v9, v11, v9
	ds_write_b32 v3, v8
	ds_write_b32 v4, v9
.LBB0_8:
	s_or_b64 exec, exec, s[4:5]
	v_and_b32_e32 v8, 7, v0
	v_cmp_eq_u32_e64 s[4:5], 7, v8
	v_add_u32_e32 v9, -16, v3
	v_add_u32_e32 v8, -16, v4
	s_waitcnt lgkmcnt(0)
	s_barrier
	s_and_saveexec_b64 s[8:9], s[4:5]
	s_cbranch_execz .LBB0_10
; %bb.9:
	ds_read_b32 v10, v9
	ds_read_b32 v11, v8
	;; [unrolled: 1-line block ×4, first 2 shown]
	s_waitcnt lgkmcnt(1)
	v_add_u32_e32 v10, v12, v10
	s_waitcnt lgkmcnt(0)
	v_add_u32_e32 v11, v13, v11
	ds_write_b32 v3, v10
	ds_write_b32 v4, v11
.LBB0_10:
	s_or_b64 exec, exec, s[8:9]
	v_and_b32_e32 v10, 15, v0
	v_cmp_eq_u32_e64 s[14:15], 15, v10
	v_subrev_u32_e32 v11, 32, v3
	v_subrev_u32_e32 v10, 32, v4
	s_waitcnt lgkmcnt(0)
	s_barrier
	s_and_saveexec_b64 s[8:9], s[14:15]
	s_cbranch_execz .LBB0_12
; %bb.11:
	ds_read_b32 v12, v11
	ds_read_b32 v13, v10
	;; [unrolled: 1-line block ×4, first 2 shown]
	s_waitcnt lgkmcnt(1)
	v_add_u32_e32 v12, v14, v12
	s_waitcnt lgkmcnt(0)
	v_add_u32_e32 v13, v15, v13
	ds_write_b32 v3, v12
	ds_write_b32 v4, v13
.LBB0_12:
	s_or_b64 exec, exec, s[8:9]
	v_and_b32_e32 v12, 31, v0
	v_cmp_eq_u32_e64 s[8:9], 31, v12
	v_subrev_u32_e32 v13, 64, v3
	v_subrev_u32_e32 v12, 64, v4
	s_waitcnt lgkmcnt(0)
	s_barrier
	s_and_saveexec_b64 s[10:11], s[8:9]
	s_cbranch_execz .LBB0_14
; %bb.13:
	ds_read_b32 v14, v13
	ds_read_b32 v15, v12
	;; [unrolled: 1-line block ×4, first 2 shown]
	s_waitcnt lgkmcnt(1)
	v_add_u32_e32 v14, v16, v14
	s_waitcnt lgkmcnt(0)
	v_add_u32_e32 v15, v17, v15
	ds_write_b32 v3, v14
	ds_write_b32 v4, v15
.LBB0_14:
	s_or_b64 exec, exec, s[10:11]
	v_and_b32_e32 v14, 63, v0
	v_cmp_eq_u32_e64 s[10:11], 63, v14
	s_waitcnt lgkmcnt(0)
	s_barrier
	s_and_saveexec_b64 s[12:13], s[10:11]
	s_cbranch_execz .LBB0_16
; %bb.15:
	v_add_u32_e32 v14, 0xffffff80, v3
	v_add_u32_e32 v15, 0xffffff80, v4
	ds_read_b32 v14, v14
	ds_read_b32 v15, v15
	;; [unrolled: 1-line block ×4, first 2 shown]
	s_waitcnt lgkmcnt(1)
	v_add_u32_e32 v14, v16, v14
	ds_write_b32 v3, v14
	s_waitcnt lgkmcnt(1)
	v_add_u32_e32 v14, v17, v15
	ds_write_b32 v4, v14
.LBB0_16:
	s_or_b64 exec, exec, s[12:13]
	s_movk_i32 s12, 0x7f
	v_and_b32_e32 v14, 0x7f, v0
	v_cmp_eq_u32_e64 s[12:13], s12, v14
	s_waitcnt lgkmcnt(0)
	s_barrier
	s_and_saveexec_b64 s[30:31], s[12:13]
	s_cbranch_execz .LBB0_18
; %bb.17:
	v_add_u32_e32 v14, 0xffffff00, v3
	v_add_u32_e32 v15, 0xffffff00, v4
	ds_read_b32 v14, v14
	ds_read_b32 v15, v15
	;; [unrolled: 1-line block ×4, first 2 shown]
	s_waitcnt lgkmcnt(1)
	v_add_u32_e32 v14, v16, v14
	ds_write_b32 v3, v14
	s_waitcnt lgkmcnt(1)
	v_add_u32_e32 v14, v17, v15
	ds_write_b32 v4, v14
.LBB0_18:
	s_or_b64 exec, exec, s[30:31]
	s_waitcnt lgkmcnt(0)
	s_barrier
	s_and_saveexec_b64 s[30:31], s[12:13]
	s_cbranch_execz .LBB0_20
; %bb.19:
	ds_read_b32 v14, v3
	ds_read_b32 v16, v4
	v_mov_b32_e32 v17, 0
	s_waitcnt lgkmcnt(1)
	v_mov_b32_e32 v15, v14
	s_waitcnt lgkmcnt(0)
	ds_write2_b32 v17, v16, v16 offset0:128 offset1:131
	ds_write_b64 v17, v[14:15] offset:1040
	ds_write_b32 v3, v17
	ds_write_b32 v4, v17
.LBB0_20:
	s_or_b64 exec, exec, s[30:31]
	s_and_saveexec_b64 s[30:31], s[12:13]
	s_cbranch_execz .LBB0_22
; %bb.21:
	v_add_u32_e32 v15, 0xffffff00, v4
	v_add_u32_e32 v14, 0xffffff00, v3
	ds_read_b32 v16, v15
	ds_read_b32 v17, v3
	;; [unrolled: 1-line block ×4, first 2 shown]
	s_waitcnt lgkmcnt(2)
	ds_write_b32 v14, v17
	s_waitcnt lgkmcnt(2)
	v_add_u32_e32 v14, v17, v18
	ds_write_b32 v3, v14
	s_waitcnt lgkmcnt(2)
	ds_write_b32 v15, v19
	v_add_u32_e32 v14, v19, v16
	ds_write_b32 v4, v14
.LBB0_22:
	s_or_b64 exec, exec, s[30:31]
	s_waitcnt lgkmcnt(0)
	s_barrier
	s_and_saveexec_b64 s[12:13], s[10:11]
	s_cbranch_execz .LBB0_24
; %bb.23:
	v_add_u32_e32 v15, 0xffffff80, v4
	v_add_u32_e32 v14, 0xffffff80, v3
	ds_read_b32 v16, v15
	ds_read_b32 v17, v3
	ds_read_b32 v18, v14
	ds_read_b32 v19, v4
	s_waitcnt lgkmcnt(2)
	ds_write_b32 v14, v17
	s_waitcnt lgkmcnt(2)
	v_add_u32_e32 v14, v17, v18
	ds_write_b32 v3, v14
	s_waitcnt lgkmcnt(2)
	ds_write_b32 v15, v19
	v_add_u32_e32 v14, v19, v16
	ds_write_b32 v4, v14
.LBB0_24:
	s_or_b64 exec, exec, s[12:13]
	s_waitcnt lgkmcnt(0)
	s_barrier
	s_and_saveexec_b64 s[10:11], s[8:9]
	s_cbranch_execz .LBB0_26
; %bb.25:
	ds_read_b32 v14, v12
	ds_read_b32 v15, v3
	ds_read_b32 v16, v13
	ds_read_b32 v17, v4
	s_waitcnt lgkmcnt(2)
	ds_write_b32 v13, v15
	s_waitcnt lgkmcnt(2)
	v_add_u32_e32 v13, v15, v16
	ds_write_b32 v3, v13
	s_waitcnt lgkmcnt(2)
	ds_write_b32 v12, v17
	v_add_u32_e32 v12, v17, v14
	ds_write_b32 v4, v12
.LBB0_26:
	s_or_b64 exec, exec, s[10:11]
	s_waitcnt lgkmcnt(0)
	s_barrier
	s_and_saveexec_b64 s[8:9], s[14:15]
	s_cbranch_execz .LBB0_28
; %bb.27:
	ds_read_b32 v12, v10
	ds_read_b32 v13, v3
	ds_read_b32 v14, v11
	ds_read_b32 v15, v4
	s_waitcnt lgkmcnt(2)
	ds_write_b32 v11, v13
	s_waitcnt lgkmcnt(2)
	v_add_u32_e32 v11, v13, v14
	ds_write_b32 v3, v11
	s_waitcnt lgkmcnt(2)
	ds_write_b32 v10, v15
	v_add_u32_e32 v10, v15, v12
	ds_write_b32 v4, v10
.LBB0_28:
	;; [unrolled: 20-line block ×4, first 2 shown]
	s_or_b64 exec, exec, s[4:5]
	s_waitcnt lgkmcnt(0)
	s_barrier
	s_and_saveexec_b64 s[2:3], s[0:1]
	s_cbranch_execz .LBB0_34
; %bb.33:
	ds_read2_b32 v[6:7], v2 offset1:1
	ds_read2_b32 v[8:9], v5 offset1:1
	s_waitcnt lgkmcnt(1)
	v_add_u32_e32 v6, v7, v6
	s_waitcnt lgkmcnt(0)
	v_add_u32_e32 v8, v9, v8
	ds_write2_b32 v2, v7, v6 offset1:1
	ds_write2_b32 v5, v9, v8 offset1:1
.LBB0_34:
	s_or_b64 exec, exec, s[2:3]
	v_cmp_eq_u32_e64 s[0:1], 0, v0
	s_waitcnt lgkmcnt(0)
	s_barrier
                                        ; implicit-def: $sgpr12_sgpr13
                                        ; implicit-def: $sgpr10_sgpr11
                                        ; implicit-def: $sgpr2_sgpr3
                                        ; implicit-def: $sgpr8_sgpr9
                                        ; implicit-def: $sgpr4_sgpr5
	s_and_saveexec_b64 s[14:15], s[0:1]
	s_cbranch_execz .LBB0_40
; %bb.35:
	v_mov_b32_e32 v2, 0
	ds_read_b32 v0, v2 offset:1044
	s_mov_b64 s[8:9], exec
	s_mul_hi_u32 s2, s34, 20
	s_mul_i32 s34, s34, 20
	v_mbcnt_lo_u32_b32 v5, s8, 0
	s_add_u32 s4, s22, s34
	v_mbcnt_hi_u32_b32 v5, s9, v5
	s_addc_u32 s5, s23, s2
	v_cmp_eq_u32_e64 s[2:3], 0, v5
                                        ; implicit-def: $vgpr6
	s_and_saveexec_b64 s[10:11], s[2:3]
	s_cbranch_execz .LBB0_37
; %bb.36:
	s_bcnt1_i32_b64 s2, s[8:9]
	s_waitcnt lgkmcnt(0)
	v_mul_lo_u32 v6, v0, s2
	global_atomic_add v6, v2, v6, s[4:5] glc
.LBB0_37:
	s_or_b64 exec, exec, s[10:11]
	s_waitcnt lgkmcnt(0)
	v_mul_lo_u32 v5, v0, v5
	ds_read_b32 v0, v2 offset:524
	s_waitcnt vmcnt(0)
	v_readfirstlane_b32 s2, v6
	s_mov_b64 s[10:11], exec
	v_add_u32_e32 v5, s2, v5
	ds_write_b32 v2, v5 offset:520
	v_mbcnt_lo_u32_b32 v5, s10, 0
	s_add_u32 s8, s4, 4
	v_mbcnt_hi_u32_b32 v5, s11, v5
	s_addc_u32 s9, s5, 0
	s_waitcnt lgkmcnt(1)
	v_sub_u32_e32 v2, 0, v0
	v_cmp_eq_u32_e64 s[2:3], 0, v5
                                        ; implicit-def: $vgpr6
	s_and_saveexec_b64 s[12:13], s[2:3]
	s_cbranch_execz .LBB0_39
; %bb.38:
	s_bcnt1_i32_b64 s2, s[10:11]
	v_mul_lo_u32 v6, v2, s2
	v_mov_b32_e32 v7, 0
	global_atomic_add v6, v7, v6, s[8:9] glc
.LBB0_39:
	s_or_b64 exec, exec, s[12:13]
	s_add_u32 s2, s4, 8
	v_mul_lo_u32 v2, v2, v5
	s_addc_u32 s3, s5, 0
	s_add_u32 s10, s4, 12
	s_addc_u32 s11, s5, 0
	s_waitcnt vmcnt(0)
	v_readfirstlane_b32 s22, v6
	s_add_u32 s12, s4, 16
	v_add_u32_e32 v2, s22, v2
	s_addc_u32 s13, s5, 0
	v_sub_u32_e32 v0, v2, v0
	v_mov_b32_e32 v2, 0
	ds_write_b32 v2, v0 offset:516
.LBB0_40:
	s_or_b64 exec, exec, s[14:15]
	s_and_b64 s[14:15], s[28:29], exec
	s_cselect_b32 s24, s19, s17
	s_cselect_b32 s28, s18, s16
	s_waitcnt lgkmcnt(0)
	s_barrier
	s_and_saveexec_b64 s[14:15], vcc
	s_cbranch_execz .LBB0_47
; %bb.41:
	v_mov_b32_e32 v2, 0
	ds_read_b32 v0, v4
	ds_read2_b32 v[4:5], v2 offset0:129 offset1:130
	ds_read_b32 v6, v3
	s_mov_b64 s[18:19], 0
	s_waitcnt lgkmcnt(1)
	v_add_u32_e32 v3, v0, v4
	s_waitcnt lgkmcnt(0)
	v_add_u32_e32 v5, v6, v5
	v_mov_b32_e32 v0, s33
	s_branch .LBB0_43
.LBB0_42:                               ;   in Loop: Header=BB0_43 Depth=1
	s_or_b64 exec, exec, s[22:23]
	v_add_u32_e32 v1, 0x80, v1
	v_cmp_le_u32_e32 vcc, s25, v1
	s_or_b64 s[18:19], vcc, s[18:19]
	s_andn2_b64 exec, exec, s[18:19]
	s_cbranch_execz .LBB0_47
.LBB0_43:                               ; =>This Inner Loop Header: Depth=1
	v_lshlrev_b64 v[6:7], 2, v[1:2]
	v_add_co_u32_e32 v6, vcc, s7, v6
	v_addc_co_u32_e32 v7, vcc, v0, v7, vcc
	global_load_dword v7, v[6:7], off
	s_waitcnt vmcnt(0)
	v_cmp_gt_u32_e32 vcc, s26, v7
	s_and_saveexec_b64 s[22:23], vcc
	s_cbranch_execz .LBB0_45
; %bb.44:                               ;   in Loop: Header=BB0_43 Depth=1
	v_mov_b32_e32 v6, v2
	v_lshlrev_b64 v[8:9], 2, v[5:6]
	v_mov_b32_e32 v4, s24
	v_add_co_u32_e32 v8, vcc, s28, v8
	v_addc_co_u32_e32 v9, vcc, v4, v9, vcc
	v_add_u32_e32 v5, 1, v5
	global_store_dword v[8:9], v7, off
.LBB0_45:                               ;   in Loop: Header=BB0_43 Depth=1
	s_or_b64 exec, exec, s[22:23]
	v_cmp_lt_u32_e32 vcc, s26, v7
	s_and_saveexec_b64 s[22:23], vcc
	s_cbranch_execz .LBB0_42
; %bb.46:                               ;   in Loop: Header=BB0_43 Depth=1
	v_mov_b32_e32 v4, v2
	v_lshlrev_b64 v[8:9], 2, v[3:4]
	v_mov_b32_e32 v4, s24
	v_add_co_u32_e32 v8, vcc, s28, v8
	v_addc_co_u32_e32 v9, vcc, v4, v9, vcc
	v_add_u32_e32 v3, 1, v3
	global_store_dword v[8:9], v7, off
	s_branch .LBB0_42
.LBB0_47:
	s_or_b64 exec, exec, s[14:15]
	s_waitcnt vmcnt(0)
	s_barrier
	s_and_saveexec_b64 s[14:15], s[0:1]
	s_cbranch_execz .LBB0_59
; %bb.48:
	s_mov_b64 s[14:15], exec
	v_mbcnt_lo_u32_b32 v0, s14, 0
	v_mbcnt_hi_u32_b32 v0, s15, v0
	v_cmp_eq_u32_e32 vcc, 0, v0
                                        ; implicit-def: $vgpr1
	s_and_saveexec_b64 s[0:1], vcc
	s_cbranch_execz .LBB0_50
; %bb.49:
	s_bcnt1_i32_b64 s7, s[14:15]
	s_sub_i32 s7, 0, s7
	v_mov_b32_e32 v1, 0
	v_mov_b32_e32 v2, s7
	global_atomic_add v1, v1, v2, s[12:13] glc
.LBB0_50:
	s_or_b64 exec, exec, s[0:1]
	s_waitcnt vmcnt(0)
	v_readfirstlane_b32 s0, v1
	v_sub_u32_e32 v0, s0, v0
	v_cmp_eq_u32_e32 vcc, 0, v0
	s_and_b64 exec, exec, vcc
	s_cbranch_execz .LBB0_59
; %bb.51:
	v_mov_b32_e32 v0, 0
	global_load_dword v1, v0, s[4:5]
	global_load_dword v2, v0, s[8:9]
	;; [unrolled: 1-line block ×4, first 2 shown]
	s_waitcnt vmcnt(3)
	v_readfirstlane_b32 s2, v1
	s_waitcnt vmcnt(2)
	v_cmp_ge_u32_e32 vcc, v1, v2
	v_readfirstlane_b32 s0, v2
	s_waitcnt vmcnt(1)
	v_readfirstlane_b32 s4, v3
	s_waitcnt vmcnt(0)
	v_readfirstlane_b32 s7, v4
	s_cbranch_vccnz .LBB0_54
; %bb.52:
	s_mov_b32 s3, 0
	s_lshl_b64 s[8:9], s[2:3], 2
	s_add_u32 s8, s16, s8
	s_addc_u32 s9, s17, s9
	v_mov_b32_e32 v1, s26
	s_mov_b32 s1, s2
.LBB0_53:                               ; =>This Inner Loop Header: Depth=1
	s_add_i32 s1, s1, 1
	global_store_dword v0, v1, s[8:9]
	s_add_u32 s8, s8, 4
	s_addc_u32 s9, s9, 0
	s_cmp_lt_u32 s1, s0
	s_cbranch_scc1 .LBB0_53
.LBB0_54:
	s_mov_b32 s5, 0
	s_lshl_b64 s[8:9], s[4:5], 2
	s_add_u32 s8, s28, s8
	s_addc_u32 s9, s24, s9
	s_add_i32 s10, s7, -1
	s_mov_b32 s11, s5
	s_lshl_b64 s[10:11], s[10:11], 2
	s_add_u32 s10, s28, s10
	s_addc_u32 s11, s24, s11
	global_load_dword v5, v0, s[8:9]
	global_load_dword v2, v0, s[10:11]
	s_cmp_ge_u32 s4, s2
	s_cbranch_scc1 .LBB0_56
; %bb.55:
	s_add_i32 s1, s4, s2
	s_lshr_b32 s8, s1, 1
	s_mov_b32 s9, s5
	s_lshl_b64 s[8:9], s[8:9], 2
	s_add_u32 s8, s28, s8
	s_addc_u32 s9, s24, s9
	v_mov_b32_e32 v0, 0
	global_load_dword v1, v0, s[8:9]
	s_add_i32 s8, s2, -1
	s_mov_b32 s9, s5
	s_lshl_b64 s[8:9], s[8:9], 2
	s_add_u32 s8, s28, s8
	s_addc_u32 s9, s24, s9
	global_load_dword v0, v0, s[8:9]
	s_waitcnt vmcnt(1)
	v_max_u32_e32 v3, v5, v1
	v_min_u32_e32 v1, v5, v1
	s_waitcnt vmcnt(0)
	v_max_u32_e32 v1, v1, v0
	v_cmp_lt_u32_e32 vcc, v3, v0
	v_cndmask_b32_e32 v5, v1, v3, vcc
.LBB0_56:
	s_cmp_ge_u32 s0, s7
	s_cbranch_scc1 .LBB0_58
; %bb.57:
	s_mov_b32 s1, 0
	s_lshl_b64 s[8:9], s[0:1], 2
	s_add_u32 s8, s28, s8
	s_addc_u32 s9, s24, s9
	s_add_i32 s3, s7, s0
	s_lshr_b32 s10, s3, 1
	s_mov_b32 s11, s1
	s_lshl_b64 s[10:11], s[10:11], 2
	v_mov_b32_e32 v0, 0
	s_add_u32 s10, s28, s10
	s_addc_u32 s11, s24, s11
	global_load_dword v1, v0, s[8:9]
	global_load_dword v3, v0, s[10:11]
	s_waitcnt vmcnt(0)
	v_max_u32_e32 v0, v1, v3
	v_min_u32_e32 v1, v1, v3
	v_max_u32_e32 v1, v1, v2
	v_cmp_lt_u32_e32 vcc, v0, v2
	v_cndmask_b32_e32 v2, v1, v0, vcc
.LBB0_58:
	s_lshl_b32 s8, s6, 1
	s_mov_b32 s9, 0
	s_lshl_b64 s[8:9], s[8:9], 4
	s_add_u32 s8, s20, s8
	s_addc_u32 s9, s21, s9
	s_xor_b32 s1, s27, 1
	v_mov_b32_e32 v7, 0
	v_mov_b32_e32 v3, s4
	;; [unrolled: 1-line block ×4, first 2 shown]
	s_waitcnt vmcnt(1)
	global_store_dwordx4 v7, v[3:6], s[8:9]
	v_mov_b32_e32 v0, s0
	v_mov_b32_e32 v1, s7
	;; [unrolled: 1-line block ×3, first 2 shown]
	s_waitcnt vmcnt(1)
	global_store_dwordx4 v7, v[0:3], s[8:9] offset:16
.LBB0_59:
	s_endpgm
	.section	.rodata,"a",@progbits
	.p2align	6, 0x0
	.amdhsa_kernel _Z13gqsort_kernelIjEvPT_S1_P12block_recordIS0_EP13parent_recordP11work_recordIS0_E
		.amdhsa_group_segment_fixed_size 1048
		.amdhsa_private_segment_fixed_size 0
		.amdhsa_kernarg_size 40
		.amdhsa_user_sgpr_count 6
		.amdhsa_user_sgpr_private_segment_buffer 1
		.amdhsa_user_sgpr_dispatch_ptr 0
		.amdhsa_user_sgpr_queue_ptr 0
		.amdhsa_user_sgpr_kernarg_segment_ptr 1
		.amdhsa_user_sgpr_dispatch_id 0
		.amdhsa_user_sgpr_flat_scratch_init 0
		.amdhsa_user_sgpr_private_segment_size 0
		.amdhsa_uses_dynamic_stack 0
		.amdhsa_system_sgpr_private_segment_wavefront_offset 0
		.amdhsa_system_sgpr_workgroup_id_x 1
		.amdhsa_system_sgpr_workgroup_id_y 0
		.amdhsa_system_sgpr_workgroup_id_z 0
		.amdhsa_system_sgpr_workgroup_info 0
		.amdhsa_system_vgpr_workitem_id 0
		.amdhsa_next_free_vgpr 20
		.amdhsa_next_free_sgpr 35
		.amdhsa_reserve_vcc 1
		.amdhsa_reserve_flat_scratch 0
		.amdhsa_float_round_mode_32 0
		.amdhsa_float_round_mode_16_64 0
		.amdhsa_float_denorm_mode_32 3
		.amdhsa_float_denorm_mode_16_64 3
		.amdhsa_dx10_clamp 1
		.amdhsa_ieee_mode 1
		.amdhsa_fp16_overflow 0
		.amdhsa_exception_fp_ieee_invalid_op 0
		.amdhsa_exception_fp_denorm_src 0
		.amdhsa_exception_fp_ieee_div_zero 0
		.amdhsa_exception_fp_ieee_overflow 0
		.amdhsa_exception_fp_ieee_underflow 0
		.amdhsa_exception_fp_ieee_inexact 0
		.amdhsa_exception_int_div_zero 0
	.end_amdhsa_kernel
	.section	.text._Z13gqsort_kernelIjEvPT_S1_P12block_recordIS0_EP13parent_recordP11work_recordIS0_E,"axG",@progbits,_Z13gqsort_kernelIjEvPT_S1_P12block_recordIS0_EP13parent_recordP11work_recordIS0_E,comdat
.Lfunc_end0:
	.size	_Z13gqsort_kernelIjEvPT_S1_P12block_recordIS0_EP13parent_recordP11work_recordIS0_E, .Lfunc_end0-_Z13gqsort_kernelIjEvPT_S1_P12block_recordIS0_EP13parent_recordP11work_recordIS0_E
                                        ; -- End function
	.set _Z13gqsort_kernelIjEvPT_S1_P12block_recordIS0_EP13parent_recordP11work_recordIS0_E.num_vgpr, 20
	.set _Z13gqsort_kernelIjEvPT_S1_P12block_recordIS0_EP13parent_recordP11work_recordIS0_E.num_agpr, 0
	.set _Z13gqsort_kernelIjEvPT_S1_P12block_recordIS0_EP13parent_recordP11work_recordIS0_E.numbered_sgpr, 35
	.set _Z13gqsort_kernelIjEvPT_S1_P12block_recordIS0_EP13parent_recordP11work_recordIS0_E.num_named_barrier, 0
	.set _Z13gqsort_kernelIjEvPT_S1_P12block_recordIS0_EP13parent_recordP11work_recordIS0_E.private_seg_size, 0
	.set _Z13gqsort_kernelIjEvPT_S1_P12block_recordIS0_EP13parent_recordP11work_recordIS0_E.uses_vcc, 1
	.set _Z13gqsort_kernelIjEvPT_S1_P12block_recordIS0_EP13parent_recordP11work_recordIS0_E.uses_flat_scratch, 0
	.set _Z13gqsort_kernelIjEvPT_S1_P12block_recordIS0_EP13parent_recordP11work_recordIS0_E.has_dyn_sized_stack, 0
	.set _Z13gqsort_kernelIjEvPT_S1_P12block_recordIS0_EP13parent_recordP11work_recordIS0_E.has_recursion, 0
	.set _Z13gqsort_kernelIjEvPT_S1_P12block_recordIS0_EP13parent_recordP11work_recordIS0_E.has_indirect_call, 0
	.section	.AMDGPU.csdata,"",@progbits
; Kernel info:
; codeLenInByte = 2904
; TotalNumSgprs: 39
; NumVgprs: 20
; ScratchSize: 0
; MemoryBound: 0
; FloatMode: 240
; IeeeMode: 1
; LDSByteSize: 1048 bytes/workgroup (compile time only)
; SGPRBlocks: 4
; VGPRBlocks: 4
; NumSGPRsForWavesPerEU: 39
; NumVGPRsForWavesPerEU: 20
; Occupancy: 10
; WaveLimiterHint : 1
; COMPUTE_PGM_RSRC2:SCRATCH_EN: 0
; COMPUTE_PGM_RSRC2:USER_SGPR: 6
; COMPUTE_PGM_RSRC2:TRAP_HANDLER: 0
; COMPUTE_PGM_RSRC2:TGID_X_EN: 1
; COMPUTE_PGM_RSRC2:TGID_Y_EN: 0
; COMPUTE_PGM_RSRC2:TGID_Z_EN: 0
; COMPUTE_PGM_RSRC2:TIDIG_COMP_CNT: 0
	.text
	.p2align	2                               ; -- Begin function _Z14sort_thresholdIjEvPT_S1_jjS1_j
	.type	_Z14sort_thresholdIjEvPT_S1_jjS1_j,@function
_Z14sort_thresholdIjEvPT_S1_jjS1_j:     ; @_Z14sort_thresholdIjEvPT_S1_jjS1_j
; %bb.0:
	s_waitcnt vmcnt(0) expcnt(0) lgkmcnt(0)
	v_sub_u32_e32 v5, v5, v4
	s_movk_i32 s4, 0x100
	v_cmp_ne_u32_e32 vcc, s4, v5
	s_and_saveexec_b64 s[4:5], vcc
	s_xor_b64 s[6:7], exec, s[4:5]
	s_cbranch_execnz .LBB1_3
; %bb.1:
	s_andn2_saveexec_b64 s[6:7], s[6:7]
	s_cbranch_execnz .LBB1_18
.LBB1_2:
	s_or_b64 exec, exec, s[6:7]
	s_waitcnt vmcnt(0) lgkmcnt(0)
	s_setpc_b64 s[30:31]
.LBB1_3:
	v_cmp_gt_u32_e32 vcc, 2, v5
	s_and_saveexec_b64 s[4:5], vcc
	s_xor_b64 s[8:9], exec, s[4:5]
	s_cbranch_execz .LBB1_7
; %bb.4:
	v_cmp_eq_u32_e32 vcc, 1, v5
	v_cmp_eq_u32_e64 s[4:5], 0, v6
	s_and_b64 s[10:11], vcc, s[4:5]
	s_and_saveexec_b64 s[4:5], s[10:11]
	s_cbranch_execz .LBB1_6
; %bb.5:
	v_mov_b32_e32 v5, 0
	v_lshlrev_b64 v[4:5], 2, v[4:5]
	v_add_co_u32_e32 v0, vcc, v0, v4
	v_addc_co_u32_e32 v1, vcc, v1, v5, vcc
	flat_load_dword v6, v[0:1]
	v_add_co_u32_e32 v0, vcc, v2, v4
	v_addc_co_u32_e32 v1, vcc, v3, v5, vcc
	s_waitcnt vmcnt(0) lgkmcnt(0)
	flat_store_dword v[0:1], v6
.LBB1_6:
	s_or_b64 exec, exec, s[4:5]
                                        ; implicit-def: $vgpr6
                                        ; implicit-def: $vgpr5
                                        ; implicit-def: $vgpr4
                                        ; implicit-def: $vgpr2
                                        ; implicit-def: $vgpr3
                                        ; implicit-def: $vgpr0
                                        ; implicit-def: $vgpr1
.LBB1_7:
	s_andn2_saveexec_b64 s[4:5], s[8:9]
	s_cbranch_execz .LBB1_17
; %bb.8:
	s_movk_i32 s8, 0x100
	v_cmp_gt_u32_e32 vcc, s8, v6
	s_and_saveexec_b64 s[8:9], vcc
	s_cbranch_execz .LBB1_13
; %bb.9:
	v_mov_b32_e32 v7, 0x3600
	v_lshl_add_u32 v9, v6, 2, v7
	s_mov_b64 s[10:11], 0
	v_mov_b32_e32 v8, 0
	s_movk_i32 s14, 0x7f
	v_mov_b32_e32 v10, v6
	s_branch .LBB1_11
.LBB1_10:                               ;   in Loop: Header=BB1_11 Depth=1
	s_or_b64 exec, exec, s[12:13]
	s_waitcnt vmcnt(0) lgkmcnt(0)
	ds_write_b32 v9, v7
	v_add_u32_e32 v7, 0x80, v10
	v_cmp_lt_u32_e32 vcc, s14, v10
	v_add_u32_e32 v9, 0x200, v9
	s_or_b64 s[10:11], vcc, s[10:11]
	v_mov_b32_e32 v10, v7
	s_andn2_b64 exec, exec, s[10:11]
	s_cbranch_execz .LBB1_13
.LBB1_11:                               ; =>This Inner Loop Header: Depth=1
	v_cmp_lt_u32_e32 vcc, v10, v5
	v_mov_b32_e32 v7, -1
	s_and_saveexec_b64 s[12:13], vcc
	s_cbranch_execz .LBB1_10
; %bb.12:                               ;   in Loop: Header=BB1_11 Depth=1
	v_add_u32_e32 v7, v4, v10
	v_lshlrev_b64 v[11:12], 2, v[7:8]
	v_add_co_u32_e32 v11, vcc, v0, v11
	v_addc_co_u32_e32 v12, vcc, v1, v12, vcc
	flat_load_dword v7, v[11:12]
	s_branch .LBB1_10
.LBB1_13:
	s_or_b64 exec, exec, s[8:9]
	v_lshlrev_b32_e32 v0, 3, v6
	s_waitcnt vmcnt(0) lgkmcnt(0)
	s_barrier
	ds_read_b64 v[8:9], v0 offset:13824
	v_lshlrev_b32_e32 v7, 1, v6
	v_and_b32_e32 v1, 1, v6
	v_cmp_eq_u32_e32 vcc, 0, v1
	v_sub_u32_e32 v1, v7, v1
	s_waitcnt lgkmcnt(0)
	v_max_u32_e32 v10, v8, v9
	v_min_u32_e32 v9, v8, v9
	v_lshlrev_b32_e32 v1, 2, v1
	v_cndmask_b32_e32 v8, v10, v9, vcc
	v_cndmask_b32_e32 v9, v9, v10, vcc
	v_add_u32_e32 v1, 0x3400, v1
	ds_write_b64 v0, v[8:9] offset:13824
	s_waitcnt lgkmcnt(0)
	s_barrier
	ds_read2_b32 v[8:9], v1 offset0:128 offset1:130
	v_and_b32_e32 v10, 2, v6
	v_cmp_eq_u32_e32 vcc, 0, v10
	s_waitcnt lgkmcnt(0)
	v_max_u32_e32 v11, v8, v9
	v_min_u32_e32 v8, v8, v9
	v_cndmask_b32_e32 v9, v11, v8, vcc
	v_cndmask_b32_e32 v8, v8, v11, vcc
	ds_write2_b32 v1, v9, v8 offset0:128 offset1:130
	s_waitcnt lgkmcnt(0)
	s_barrier
	ds_read_b64 v[8:9], v0 offset:13824
	v_and_b32_e32 v11, 4, v6
	s_waitcnt lgkmcnt(0)
	v_max_u32_e32 v10, v8, v9
	v_min_u32_e32 v9, v8, v9
	v_cndmask_b32_e32 v8, v10, v9, vcc
	v_cndmask_b32_e32 v9, v9, v10, vcc
	ds_write_b64 v0, v[8:9] offset:13824
	v_and_b32_e32 v8, 3, v6
	v_sub_u32_e32 v8, v7, v8
	v_lshlrev_b32_e32 v8, 2, v8
	v_add_u32_e32 v8, 0x3400, v8
	s_waitcnt lgkmcnt(0)
	s_barrier
	ds_read2_b32 v[9:10], v8 offset0:128 offset1:132
	v_cmp_eq_u32_e32 vcc, 0, v11
	s_waitcnt lgkmcnt(0)
	v_max_u32_e32 v12, v9, v10
	v_min_u32_e32 v9, v9, v10
	v_cndmask_b32_e32 v10, v12, v9, vcc
	v_cndmask_b32_e32 v9, v9, v12, vcc
	ds_write2_b32 v8, v10, v9 offset0:128 offset1:132
	s_waitcnt lgkmcnt(0)
	s_barrier
	ds_read2_b32 v[9:10], v1 offset0:128 offset1:130
	v_and_b32_e32 v12, 8, v6
	s_waitcnt lgkmcnt(0)
	v_max_u32_e32 v11, v9, v10
	v_min_u32_e32 v9, v9, v10
	v_cndmask_b32_e32 v10, v11, v9, vcc
	v_cndmask_b32_e32 v9, v9, v11, vcc
	ds_write2_b32 v1, v10, v9 offset0:128 offset1:130
	s_waitcnt lgkmcnt(0)
	s_barrier
	ds_read_b64 v[9:10], v0 offset:13824
	s_waitcnt lgkmcnt(0)
	v_max_u32_e32 v11, v9, v10
	v_min_u32_e32 v10, v9, v10
	v_cndmask_b32_e32 v9, v11, v10, vcc
	v_cndmask_b32_e32 v10, v10, v11, vcc
	ds_write_b64 v0, v[9:10] offset:13824
	v_and_b32_e32 v9, 7, v6
	v_sub_u32_e32 v9, v7, v9
	v_lshlrev_b32_e32 v9, 2, v9
	v_add_u32_e32 v9, 0x3400, v9
	s_waitcnt lgkmcnt(0)
	s_barrier
	ds_read2_b32 v[10:11], v9 offset0:128 offset1:136
	v_cmp_eq_u32_e32 vcc, 0, v12
	s_waitcnt lgkmcnt(0)
	v_max_u32_e32 v13, v10, v11
	v_min_u32_e32 v10, v10, v11
	v_cndmask_b32_e32 v11, v13, v10, vcc
	v_cndmask_b32_e32 v10, v10, v13, vcc
	ds_write2_b32 v9, v11, v10 offset0:128 offset1:136
	s_waitcnt lgkmcnt(0)
	s_barrier
	ds_read2_b32 v[10:11], v8 offset0:128 offset1:132
	v_and_b32_e32 v13, 16, v6
	s_waitcnt lgkmcnt(0)
	v_max_u32_e32 v12, v10, v11
	v_min_u32_e32 v10, v10, v11
	v_cndmask_b32_e32 v11, v12, v10, vcc
	v_cndmask_b32_e32 v10, v10, v12, vcc
	ds_write2_b32 v8, v11, v10 offset0:128 offset1:132
	s_waitcnt lgkmcnt(0)
	s_barrier
	ds_read2_b32 v[10:11], v1 offset0:128 offset1:130
	s_waitcnt lgkmcnt(0)
	v_max_u32_e32 v12, v10, v11
	v_min_u32_e32 v10, v10, v11
	v_cndmask_b32_e32 v11, v12, v10, vcc
	v_cndmask_b32_e32 v10, v10, v12, vcc
	ds_write2_b32 v1, v11, v10 offset0:128 offset1:130
	s_waitcnt lgkmcnt(0)
	s_barrier
	ds_read_b64 v[10:11], v0 offset:13824
	s_waitcnt lgkmcnt(0)
	v_max_u32_e32 v12, v10, v11
	v_min_u32_e32 v11, v10, v11
	v_cndmask_b32_e32 v10, v12, v11, vcc
	v_cndmask_b32_e32 v11, v11, v12, vcc
	ds_write_b64 v0, v[10:11] offset:13824
	v_and_b32_e32 v10, 15, v6
	v_sub_u32_e32 v10, v7, v10
	v_lshlrev_b32_e32 v10, 2, v10
	v_add_u32_e32 v10, 0x3400, v10
	s_waitcnt lgkmcnt(0)
	s_barrier
	ds_read2_b32 v[11:12], v10 offset0:128 offset1:144
	v_cmp_eq_u32_e32 vcc, 0, v13
	s_waitcnt lgkmcnt(0)
	v_max_u32_e32 v14, v11, v12
	v_min_u32_e32 v11, v11, v12
	v_cndmask_b32_e32 v12, v14, v11, vcc
	v_cndmask_b32_e32 v11, v11, v14, vcc
	ds_write2_b32 v10, v12, v11 offset0:128 offset1:144
	s_waitcnt lgkmcnt(0)
	s_barrier
	ds_read2_b32 v[11:12], v9 offset0:128 offset1:136
	v_and_b32_e32 v14, 32, v6
	s_waitcnt lgkmcnt(0)
	v_max_u32_e32 v13, v11, v12
	v_min_u32_e32 v11, v11, v12
	v_cndmask_b32_e32 v12, v13, v11, vcc
	v_cndmask_b32_e32 v11, v11, v13, vcc
	ds_write2_b32 v9, v12, v11 offset0:128 offset1:136
	s_waitcnt lgkmcnt(0)
	s_barrier
	ds_read2_b32 v[11:12], v8 offset0:128 offset1:132
	s_waitcnt lgkmcnt(0)
	v_max_u32_e32 v13, v11, v12
	v_min_u32_e32 v11, v11, v12
	v_cndmask_b32_e32 v12, v13, v11, vcc
	v_cndmask_b32_e32 v11, v11, v13, vcc
	ds_write2_b32 v8, v12, v11 offset0:128 offset1:132
	s_waitcnt lgkmcnt(0)
	s_barrier
	ds_read2_b32 v[11:12], v1 offset0:128 offset1:130
	s_waitcnt lgkmcnt(0)
	v_max_u32_e32 v13, v11, v12
	v_min_u32_e32 v11, v11, v12
	v_cndmask_b32_e32 v12, v13, v11, vcc
	v_cndmask_b32_e32 v11, v11, v13, vcc
	ds_write2_b32 v1, v12, v11 offset0:128 offset1:130
	s_waitcnt lgkmcnt(0)
	s_barrier
	ds_read_b64 v[11:12], v0 offset:13824
	s_waitcnt lgkmcnt(0)
	v_max_u32_e32 v13, v11, v12
	v_min_u32_e32 v12, v11, v12
	v_cndmask_b32_e32 v11, v13, v12, vcc
	v_cndmask_b32_e32 v12, v12, v13, vcc
	ds_write_b64 v0, v[11:12] offset:13824
	v_and_b32_e32 v11, 31, v6
	v_sub_u32_e32 v11, v7, v11
	v_lshlrev_b32_e32 v11, 2, v11
	v_add_u32_e32 v11, 0x3400, v11
	s_waitcnt lgkmcnt(0)
	s_barrier
	ds_read2_b32 v[12:13], v11 offset0:128 offset1:160
	v_cmp_eq_u32_e32 vcc, 0, v14
	s_waitcnt lgkmcnt(0)
	v_max_u32_e32 v15, v12, v13
	v_min_u32_e32 v12, v12, v13
	v_cndmask_b32_e32 v13, v15, v12, vcc
	v_cndmask_b32_e32 v12, v12, v15, vcc
	ds_write2_b32 v11, v13, v12 offset0:128 offset1:160
	s_waitcnt lgkmcnt(0)
	s_barrier
	ds_read2_b32 v[12:13], v10 offset0:128 offset1:144
	v_and_b32_e32 v15, 64, v6
	s_waitcnt lgkmcnt(0)
	v_max_u32_e32 v14, v12, v13
	v_min_u32_e32 v12, v12, v13
	v_cndmask_b32_e32 v13, v14, v12, vcc
	v_cndmask_b32_e32 v12, v12, v14, vcc
	ds_write2_b32 v10, v13, v12 offset0:128 offset1:144
	s_waitcnt lgkmcnt(0)
	s_barrier
	ds_read2_b32 v[12:13], v9 offset0:128 offset1:136
	s_waitcnt lgkmcnt(0)
	v_max_u32_e32 v14, v12, v13
	v_min_u32_e32 v12, v12, v13
	v_cndmask_b32_e32 v13, v14, v12, vcc
	v_cndmask_b32_e32 v12, v12, v14, vcc
	ds_write2_b32 v9, v13, v12 offset0:128 offset1:136
	s_waitcnt lgkmcnt(0)
	s_barrier
	ds_read2_b32 v[12:13], v8 offset0:128 offset1:132
	;; [unrolled: 9-line block ×3, first 2 shown]
	s_waitcnt lgkmcnt(0)
	v_max_u32_e32 v14, v12, v13
	v_min_u32_e32 v12, v12, v13
	v_cndmask_b32_e32 v13, v14, v12, vcc
	v_cndmask_b32_e32 v12, v12, v14, vcc
	ds_write2_b32 v1, v13, v12 offset0:128 offset1:130
	s_waitcnt lgkmcnt(0)
	s_barrier
	ds_read_b64 v[12:13], v0 offset:13824
	s_waitcnt lgkmcnt(0)
	v_max_u32_e32 v14, v12, v13
	v_min_u32_e32 v13, v12, v13
	v_cndmask_b32_e32 v12, v14, v13, vcc
	v_cndmask_b32_e32 v13, v13, v14, vcc
	ds_write_b64 v0, v[12:13] offset:13824
	v_and_b32_e32 v12, 63, v6
	v_sub_u32_e32 v12, v7, v12
	v_lshlrev_b32_e32 v14, 2, v12
	s_waitcnt lgkmcnt(0)
	s_barrier
	ds_read2st64_b32 v[12:13], v14 offset0:54 offset1:55
	v_cmp_eq_u32_e32 vcc, 0, v15
	s_waitcnt lgkmcnt(0)
	v_max_u32_e32 v16, v12, v13
	v_min_u32_e32 v12, v12, v13
	v_cndmask_b32_e32 v13, v16, v12, vcc
	v_cndmask_b32_e32 v12, v12, v16, vcc
	ds_write2st64_b32 v14, v13, v12 offset0:54 offset1:55
	s_waitcnt lgkmcnt(0)
	s_barrier
	ds_read2_b32 v[12:13], v11 offset0:128 offset1:160
	s_waitcnt lgkmcnt(0)
	v_max_u32_e32 v15, v12, v13
	v_min_u32_e32 v12, v12, v13
	v_cndmask_b32_e32 v13, v15, v12, vcc
	v_cndmask_b32_e32 v12, v12, v15, vcc
	ds_write2_b32 v11, v13, v12 offset0:128 offset1:160
	s_waitcnt lgkmcnt(0)
	s_barrier
	ds_read2_b32 v[12:13], v10 offset0:128 offset1:144
	s_waitcnt lgkmcnt(0)
	v_max_u32_e32 v15, v12, v13
	v_min_u32_e32 v12, v12, v13
	v_cndmask_b32_e32 v13, v15, v12, vcc
	v_cndmask_b32_e32 v12, v12, v15, vcc
	ds_write2_b32 v10, v13, v12 offset0:128 offset1:144
	;; [unrolled: 9-line block ×5, first 2 shown]
	s_waitcnt lgkmcnt(0)
	s_barrier
	ds_read_b64 v[12:13], v0 offset:13824
	s_waitcnt lgkmcnt(0)
	v_max_u32_e32 v15, v12, v13
	v_min_u32_e32 v13, v12, v13
	v_cndmask_b32_e32 v12, v15, v13, vcc
	v_cndmask_b32_e32 v13, v13, v15, vcc
	ds_write_b64 v0, v[12:13] offset:13824
	v_and_b32_e32 v12, 0x7f, v6
	v_sub_u32_e32 v7, v7, v12
	v_lshlrev_b32_e32 v7, 2, v7
	s_waitcnt lgkmcnt(0)
	s_barrier
	ds_read2st64_b32 v[12:13], v7 offset0:54 offset1:56
	v_cmp_lt_u32_e32 vcc, v6, v5
	s_waitcnt lgkmcnt(0)
	v_min_u32_e32 v15, v12, v13
	v_max_u32_e32 v12, v12, v13
	ds_write2st64_b32 v7, v15, v12 offset0:54 offset1:56
	s_waitcnt lgkmcnt(0)
	s_barrier
	ds_read2st64_b32 v[12:13], v14 offset0:54 offset1:55
	s_waitcnt lgkmcnt(0)
	v_min_u32_e32 v7, v12, v13
	v_max_u32_e32 v12, v12, v13
	ds_write2st64_b32 v14, v7, v12 offset0:54 offset1:55
	s_waitcnt lgkmcnt(0)
	s_barrier
	ds_read2_b32 v[12:13], v11 offset0:128 offset1:160
	s_waitcnt lgkmcnt(0)
	v_min_u32_e32 v7, v12, v13
	v_max_u32_e32 v12, v12, v13
	ds_write2_b32 v11, v7, v12 offset0:128 offset1:160
	s_waitcnt lgkmcnt(0)
	s_barrier
	ds_read2_b32 v[11:12], v10 offset0:128 offset1:144
	s_waitcnt lgkmcnt(0)
	v_min_u32_e32 v7, v11, v12
	v_max_u32_e32 v11, v11, v12
	ds_write2_b32 v10, v7, v11 offset0:128 offset1:144
	;; [unrolled: 7-line block ×5, first 2 shown]
	s_waitcnt lgkmcnt(0)
	s_barrier
	ds_read_b64 v[7:8], v0 offset:13824
	s_waitcnt lgkmcnt(0)
	v_min_u32_e32 v9, v7, v8
	v_max_u32_e32 v10, v7, v8
	ds_write_b64 v0, v[9:10] offset:13824
	s_waitcnt lgkmcnt(0)
	s_barrier
	s_and_saveexec_b64 s[8:9], vcc
	s_cbranch_execz .LBB1_16
; %bb.14:
	v_mov_b32_e32 v0, 0x3600
	v_lshl_add_u32 v7, v6, 2, v0
	s_mov_b64 s[10:11], 0
	v_mov_b32_e32 v1, 0
.LBB1_15:                               ; =>This Inner Loop Header: Depth=1
	ds_read_b32 v10, v7
	v_add_u32_e32 v0, v4, v6
	v_add_u32_e32 v6, 0x80, v6
	v_lshlrev_b64 v[8:9], 2, v[0:1]
	v_cmp_ge_u32_e32 vcc, v6, v5
	s_or_b64 s[10:11], vcc, s[10:11]
	v_add_co_u32_e32 v8, vcc, v2, v8
	v_add_u32_e32 v7, 0x200, v7
	v_addc_co_u32_e32 v9, vcc, v3, v9, vcc
	s_waitcnt lgkmcnt(0)
	flat_store_dword v[8:9], v10
	s_andn2_b64 exec, exec, s[10:11]
	s_cbranch_execnz .LBB1_15
.LBB1_16:
	s_or_b64 exec, exec, s[8:9]
.LBB1_17:
	s_or_b64 exec, exec, s[4:5]
                                        ; implicit-def: $vgpr4
                                        ; implicit-def: $vgpr0
                                        ; implicit-def: $vgpr1
                                        ; implicit-def: $vgpr6
                                        ; implicit-def: $vgpr2
                                        ; implicit-def: $vgpr3
	s_andn2_saveexec_b64 s[6:7], s[6:7]
	s_cbranch_execz .LBB1_2
.LBB1_18:
	v_mov_b32_e32 v8, 0
	v_mov_b32_e32 v5, v8
	v_lshlrev_b64 v[9:10], 2, v[4:5]
	v_lshlrev_b32_e32 v7, 1, v6
	v_add_co_u32_e32 v5, vcc, v0, v9
	v_addc_co_u32_e32 v31, vcc, v1, v10, vcc
	v_lshlrev_b64 v[9:10], 2, v[7:8]
	v_and_b32_e32 v19, 1, v6
	v_add_co_u32_e32 v9, vcc, v5, v9
	v_addc_co_u32_e32 v10, vcc, v31, v10, vcc
	flat_load_dwordx2 v[15:16], v[9:10]
	v_sub_u32_e32 v11, v7, v19
	v_mov_b32_e32 v12, v8
	v_lshlrev_b64 v[13:14], 2, v[11:12]
	v_ashrrev_i32_e32 v12, 31, v11
	v_lshlrev_b64 v[17:18], 2, v[11:12]
	v_add_co_u32_e32 v11, vcc, v5, v13
	v_addc_co_u32_e32 v12, vcc, v31, v14, vcc
	v_add_co_u32_e32 v13, vcc, v5, v17
	v_addc_co_u32_e32 v14, vcc, v31, v18, vcc
	v_cmp_eq_u32_e32 vcc, 0, v19
	s_movk_i32 s10, 0x7f
	s_waitcnt vmcnt(0) lgkmcnt(0)
	v_max_u32_e32 v17, v15, v16
	v_min_u32_e32 v16, v15, v16
	v_cndmask_b32_e32 v15, v17, v16, vcc
	v_cndmask_b32_e32 v16, v16, v17, vcc
	flat_store_dwordx2 v[9:10], v[15:16]
	s_waitcnt vmcnt(0) lgkmcnt(0)
	s_barrier
	flat_load_dword v15, v[11:12]
	flat_load_dword v16, v[13:14] offset:8
	v_and_b32_e32 v17, 2, v6
	v_cmp_eq_u32_e32 vcc, 0, v17
	s_waitcnt vmcnt(0) lgkmcnt(0)
	v_max_u32_e32 v18, v15, v16
	v_min_u32_e32 v15, v15, v16
	v_cndmask_b32_e32 v16, v18, v15, vcc
	v_cndmask_b32_e32 v15, v15, v18, vcc
	flat_store_dword v[11:12], v16
	flat_store_dword v[13:14], v15 offset:8
	s_waitcnt vmcnt(0) lgkmcnt(0)
	s_barrier
	flat_load_dwordx2 v[19:20], v[9:10]
	v_and_b32_e32 v15, 3, v6
	v_sub_u32_e32 v15, v7, v15
	v_mov_b32_e32 v16, v8
	v_lshlrev_b64 v[17:18], 2, v[15:16]
	v_ashrrev_i32_e32 v16, 31, v15
	v_lshlrev_b64 v[21:22], 2, v[15:16]
	v_add_co_u32_e64 v15, s[4:5], v5, v17
	v_addc_co_u32_e64 v16, s[4:5], v31, v18, s[4:5]
	v_add_co_u32_e64 v17, s[4:5], v5, v21
	v_addc_co_u32_e64 v18, s[4:5], v31, v22, s[4:5]
	s_waitcnt vmcnt(0) lgkmcnt(0)
	v_max_u32_e32 v21, v19, v20
	v_min_u32_e32 v20, v19, v20
	v_cndmask_b32_e32 v19, v21, v20, vcc
	v_cndmask_b32_e32 v20, v20, v21, vcc
	flat_store_dwordx2 v[9:10], v[19:20]
	s_waitcnt vmcnt(0) lgkmcnt(0)
	s_barrier
	flat_load_dword v19, v[15:16]
	flat_load_dword v20, v[17:18] offset:16
	v_and_b32_e32 v21, 4, v6
	v_cmp_eq_u32_e32 vcc, 0, v21
	s_waitcnt vmcnt(0) lgkmcnt(0)
	v_max_u32_e32 v22, v19, v20
	v_min_u32_e32 v19, v19, v20
	v_cndmask_b32_e32 v20, v22, v19, vcc
	v_cndmask_b32_e32 v19, v19, v22, vcc
	flat_store_dword v[15:16], v20
	flat_store_dword v[17:18], v19 offset:16
	s_waitcnt vmcnt(0) lgkmcnt(0)
	s_barrier
	flat_load_dword v19, v[11:12]
	flat_load_dword v20, v[13:14] offset:8
	s_waitcnt vmcnt(0) lgkmcnt(0)
	v_max_u32_e32 v21, v19, v20
	v_min_u32_e32 v19, v19, v20
	v_cndmask_b32_e32 v20, v21, v19, vcc
	v_cndmask_b32_e32 v19, v19, v21, vcc
	flat_store_dword v[11:12], v20
	flat_store_dword v[13:14], v19 offset:8
	s_waitcnt vmcnt(0) lgkmcnt(0)
	s_barrier
	flat_load_dwordx2 v[23:24], v[9:10]
	v_and_b32_e32 v19, 7, v6
	v_sub_u32_e32 v19, v7, v19
	v_mov_b32_e32 v20, v8
	v_lshlrev_b64 v[21:22], 2, v[19:20]
	v_ashrrev_i32_e32 v20, 31, v19
	v_lshlrev_b64 v[25:26], 2, v[19:20]
	v_add_co_u32_e64 v19, s[4:5], v5, v21
	v_addc_co_u32_e64 v20, s[4:5], v31, v22, s[4:5]
	v_add_co_u32_e64 v21, s[4:5], v5, v25
	v_addc_co_u32_e64 v22, s[4:5], v31, v26, s[4:5]
	s_waitcnt vmcnt(0) lgkmcnt(0)
	v_max_u32_e32 v25, v23, v24
	v_min_u32_e32 v24, v23, v24
	v_cndmask_b32_e32 v23, v25, v24, vcc
	v_cndmask_b32_e32 v24, v24, v25, vcc
	flat_store_dwordx2 v[9:10], v[23:24]
	s_waitcnt vmcnt(0) lgkmcnt(0)
	s_barrier
	flat_load_dword v23, v[19:20]
	flat_load_dword v24, v[21:22] offset:32
	v_and_b32_e32 v25, 8, v6
	v_cmp_eq_u32_e32 vcc, 0, v25
	s_waitcnt vmcnt(0) lgkmcnt(0)
	v_max_u32_e32 v26, v23, v24
	v_min_u32_e32 v23, v23, v24
	v_cndmask_b32_e32 v24, v26, v23, vcc
	v_cndmask_b32_e32 v23, v23, v26, vcc
	flat_store_dword v[19:20], v24
	flat_store_dword v[21:22], v23 offset:32
	s_waitcnt vmcnt(0) lgkmcnt(0)
	s_barrier
	flat_load_dword v23, v[15:16]
	flat_load_dword v24, v[17:18] offset:16
	s_waitcnt vmcnt(0) lgkmcnt(0)
	v_max_u32_e32 v25, v23, v24
	v_min_u32_e32 v23, v23, v24
	v_cndmask_b32_e32 v24, v25, v23, vcc
	v_cndmask_b32_e32 v23, v23, v25, vcc
	flat_store_dword v[15:16], v24
	flat_store_dword v[17:18], v23 offset:16
	s_waitcnt vmcnt(0) lgkmcnt(0)
	s_barrier
	flat_load_dword v23, v[11:12]
	flat_load_dword v24, v[13:14] offset:8
	s_waitcnt vmcnt(0) lgkmcnt(0)
	v_max_u32_e32 v25, v23, v24
	v_min_u32_e32 v23, v23, v24
	v_cndmask_b32_e32 v24, v25, v23, vcc
	v_cndmask_b32_e32 v23, v23, v25, vcc
	flat_store_dword v[11:12], v24
	flat_store_dword v[13:14], v23 offset:8
	s_waitcnt vmcnt(0) lgkmcnt(0)
	s_barrier
	flat_load_dwordx2 v[27:28], v[9:10]
	v_and_b32_e32 v23, 15, v6
	v_sub_u32_e32 v23, v7, v23
	v_mov_b32_e32 v24, v8
	v_lshlrev_b64 v[25:26], 2, v[23:24]
	v_ashrrev_i32_e32 v24, 31, v23
	v_lshlrev_b64 v[29:30], 2, v[23:24]
	v_add_co_u32_e64 v23, s[4:5], v5, v25
	v_addc_co_u32_e64 v24, s[4:5], v31, v26, s[4:5]
	v_add_co_u32_e64 v25, s[4:5], v5, v29
	v_addc_co_u32_e64 v26, s[4:5], v31, v30, s[4:5]
	s_waitcnt vmcnt(0) lgkmcnt(0)
	v_max_u32_e32 v29, v27, v28
	v_min_u32_e32 v28, v27, v28
	v_cndmask_b32_e32 v27, v29, v28, vcc
	v_cndmask_b32_e32 v28, v28, v29, vcc
	flat_store_dwordx2 v[9:10], v[27:28]
	s_waitcnt vmcnt(0) lgkmcnt(0)
	s_barrier
	flat_load_dword v27, v[23:24]
	flat_load_dword v28, v[25:26] offset:64
	v_and_b32_e32 v29, 16, v6
	v_cmp_eq_u32_e32 vcc, 0, v29
	s_waitcnt vmcnt(0) lgkmcnt(0)
	v_max_u32_e32 v30, v27, v28
	v_min_u32_e32 v27, v27, v28
	v_cndmask_b32_e32 v28, v30, v27, vcc
	v_cndmask_b32_e32 v27, v27, v30, vcc
	flat_store_dword v[23:24], v28
	flat_store_dword v[25:26], v27 offset:64
	s_waitcnt vmcnt(0) lgkmcnt(0)
	s_barrier
	flat_load_dword v27, v[19:20]
	flat_load_dword v28, v[21:22] offset:32
	s_waitcnt vmcnt(0) lgkmcnt(0)
	v_max_u32_e32 v29, v27, v28
	v_min_u32_e32 v27, v27, v28
	v_cndmask_b32_e32 v28, v29, v27, vcc
	v_cndmask_b32_e32 v27, v27, v29, vcc
	flat_store_dword v[19:20], v28
	flat_store_dword v[21:22], v27 offset:32
	s_waitcnt vmcnt(0) lgkmcnt(0)
	s_barrier
	flat_load_dword v27, v[15:16]
	flat_load_dword v28, v[17:18] offset:16
	;; [unrolled: 11-line block ×3, first 2 shown]
	s_waitcnt vmcnt(0) lgkmcnt(0)
	v_max_u32_e32 v29, v27, v28
	v_min_u32_e32 v27, v27, v28
	v_cndmask_b32_e32 v28, v29, v27, vcc
	v_cndmask_b32_e32 v27, v27, v29, vcc
	flat_store_dword v[11:12], v28
	flat_store_dword v[13:14], v27 offset:8
	s_waitcnt vmcnt(0) lgkmcnt(0)
	s_barrier
	flat_load_dwordx2 v[32:33], v[9:10]
	v_and_b32_e32 v27, 31, v6
	v_sub_u32_e32 v27, v7, v27
	v_mov_b32_e32 v28, v8
	v_lshlrev_b64 v[29:30], 2, v[27:28]
	v_ashrrev_i32_e32 v28, 31, v27
	v_lshlrev_b64 v[34:35], 2, v[27:28]
	v_add_co_u32_e64 v27, s[4:5], v5, v29
	v_addc_co_u32_e64 v28, s[4:5], v31, v30, s[4:5]
	v_add_co_u32_e64 v29, s[4:5], v5, v34
	v_addc_co_u32_e64 v30, s[4:5], v31, v35, s[4:5]
	s_waitcnt vmcnt(0) lgkmcnt(0)
	v_max_u32_e32 v34, v32, v33
	v_min_u32_e32 v33, v32, v33
	v_cndmask_b32_e32 v32, v34, v33, vcc
	v_cndmask_b32_e32 v33, v33, v34, vcc
	flat_store_dwordx2 v[9:10], v[32:33]
	s_waitcnt vmcnt(0) lgkmcnt(0)
	s_barrier
	flat_load_dword v32, v[27:28]
	flat_load_dword v33, v[29:30] offset:128
	v_and_b32_e32 v34, 32, v6
	v_cmp_eq_u32_e32 vcc, 0, v34
	s_waitcnt vmcnt(0) lgkmcnt(0)
	v_max_u32_e32 v35, v32, v33
	v_min_u32_e32 v32, v32, v33
	v_cndmask_b32_e32 v33, v35, v32, vcc
	v_cndmask_b32_e32 v32, v32, v35, vcc
	flat_store_dword v[27:28], v33
	flat_store_dword v[29:30], v32 offset:128
	s_waitcnt vmcnt(0) lgkmcnt(0)
	s_barrier
	flat_load_dword v32, v[23:24]
	flat_load_dword v33, v[25:26] offset:64
	v_mov_b32_e32 v35, v8
	s_waitcnt vmcnt(0) lgkmcnt(0)
	v_max_u32_e32 v34, v32, v33
	v_min_u32_e32 v32, v32, v33
	v_cndmask_b32_e32 v33, v34, v32, vcc
	v_cndmask_b32_e32 v32, v32, v34, vcc
	flat_store_dword v[23:24], v33
	flat_store_dword v[25:26], v32 offset:64
	s_waitcnt vmcnt(0) lgkmcnt(0)
	s_barrier
	flat_load_dword v32, v[19:20]
	flat_load_dword v33, v[21:22] offset:32
	s_waitcnt vmcnt(0) lgkmcnt(0)
	v_max_u32_e32 v34, v32, v33
	v_min_u32_e32 v32, v32, v33
	v_cndmask_b32_e32 v33, v34, v32, vcc
	v_cndmask_b32_e32 v32, v32, v34, vcc
	flat_store_dword v[19:20], v33
	flat_store_dword v[21:22], v32 offset:32
	s_waitcnt vmcnt(0) lgkmcnt(0)
	s_barrier
	flat_load_dword v32, v[15:16]
	flat_load_dword v33, v[17:18] offset:16
	;; [unrolled: 11-line block ×3, first 2 shown]
	s_waitcnt vmcnt(0) lgkmcnt(0)
	v_max_u32_e32 v34, v32, v33
	v_min_u32_e32 v32, v32, v33
	v_cndmask_b32_e32 v33, v34, v32, vcc
	v_cndmask_b32_e32 v32, v32, v34, vcc
	flat_store_dword v[11:12], v33
	flat_store_dword v[13:14], v32 offset:8
	s_waitcnt vmcnt(0) lgkmcnt(0)
	s_barrier
	flat_load_dwordx2 v[32:33], v[9:10]
	v_and_b32_e32 v34, 63, v6
	v_sub_u32_e32 v34, v7, v34
	v_lshlrev_b64 v[36:37], 2, v[34:35]
	v_ashrrev_i32_e32 v35, 31, v34
	v_lshlrev_b64 v[34:35], 2, v[34:35]
	v_add_co_u32_e64 v36, s[4:5], v5, v36
	v_addc_co_u32_e64 v37, s[4:5], v31, v37, s[4:5]
	v_add_co_u32_e64 v34, s[4:5], v5, v34
	v_addc_co_u32_e64 v35, s[4:5], v31, v35, s[4:5]
	s_waitcnt vmcnt(0) lgkmcnt(0)
	v_max_u32_e32 v38, v32, v33
	v_min_u32_e32 v33, v32, v33
	v_cndmask_b32_e32 v32, v38, v33, vcc
	v_cndmask_b32_e32 v33, v33, v38, vcc
	flat_store_dwordx2 v[9:10], v[32:33]
	s_waitcnt vmcnt(0) lgkmcnt(0)
	s_barrier
	flat_load_dword v32, v[36:37]
	flat_load_dword v33, v[34:35] offset:256
	v_and_b32_e32 v38, 64, v6
	v_cmp_eq_u32_e32 vcc, 0, v38
	s_waitcnt vmcnt(0) lgkmcnt(0)
	v_max_u32_e32 v39, v32, v33
	v_min_u32_e32 v32, v32, v33
	v_cndmask_b32_e32 v33, v39, v32, vcc
	v_cndmask_b32_e32 v32, v32, v39, vcc
	flat_store_dword v[36:37], v33
	flat_store_dword v[34:35], v32 offset:256
	s_waitcnt vmcnt(0) lgkmcnt(0)
	s_barrier
	flat_load_dword v32, v[27:28]
	flat_load_dword v33, v[29:30] offset:128
	s_waitcnt vmcnt(0) lgkmcnt(0)
	v_max_u32_e32 v38, v32, v33
	v_min_u32_e32 v32, v32, v33
	v_cndmask_b32_e32 v33, v38, v32, vcc
	v_cndmask_b32_e32 v32, v32, v38, vcc
	flat_store_dword v[27:28], v33
	flat_store_dword v[29:30], v32 offset:128
	s_waitcnt vmcnt(0) lgkmcnt(0)
	s_barrier
	flat_load_dword v32, v[23:24]
	flat_load_dword v33, v[25:26] offset:64
	;; [unrolled: 11-line block ×5, first 2 shown]
	s_waitcnt vmcnt(0) lgkmcnt(0)
	v_max_u32_e32 v38, v32, v33
	v_min_u32_e32 v32, v32, v33
	v_cndmask_b32_e32 v33, v38, v32, vcc
	v_cndmask_b32_e32 v32, v32, v38, vcc
	flat_store_dword v[11:12], v33
	flat_store_dword v[13:14], v32 offset:8
	s_waitcnt vmcnt(0) lgkmcnt(0)
	s_barrier
	flat_load_dwordx2 v[32:33], v[9:10]
	v_and_b32_e32 v38, 0x7f, v6
	v_sub_u32_e32 v7, v7, v38
	v_lshlrev_b64 v[38:39], 2, v[7:8]
	v_ashrrev_i32_e32 v49, 31, v7
	v_mov_b32_e32 v48, v7
	v_lshlrev_b64 v[48:49], 2, v[48:49]
	v_add_co_u32_e64 v38, s[4:5], v5, v38
	v_addc_co_u32_e64 v39, s[4:5], v31, v39, s[4:5]
	v_add_co_u32_e64 v48, s[4:5], v5, v48
	v_addc_co_u32_e64 v49, s[4:5], v31, v49, s[4:5]
	s_movk_i32 s4, 0x100
	s_waitcnt vmcnt(0) lgkmcnt(0)
	v_max_u32_e32 v5, v32, v33
	v_min_u32_e32 v7, v32, v33
	v_cndmask_b32_e32 v31, v5, v7, vcc
	v_cndmask_b32_e32 v32, v7, v5, vcc
	flat_store_dwordx2 v[9:10], v[31:32]
	s_waitcnt vmcnt(0) lgkmcnt(0)
	s_barrier
	flat_load_dword v5, v[38:39]
	flat_load_dword v7, v[48:49] offset:512
	v_cmp_gt_u32_e32 vcc, s4, v6
	s_waitcnt vmcnt(0) lgkmcnt(0)
	v_min_u32_e32 v31, v5, v7
	v_max_u32_e32 v5, v5, v7
	flat_store_dword v[38:39], v31
	flat_store_dword v[48:49], v5 offset:512
	s_waitcnt vmcnt(0) lgkmcnt(0)
	s_barrier
	flat_load_dword v5, v[36:37]
	flat_load_dword v7, v[34:35] offset:256
	s_waitcnt vmcnt(0) lgkmcnt(0)
	v_min_u32_e32 v31, v5, v7
	v_max_u32_e32 v5, v5, v7
	flat_store_dword v[36:37], v31
	flat_store_dword v[34:35], v5 offset:256
	s_waitcnt vmcnt(0) lgkmcnt(0)
	s_barrier
	flat_load_dword v5, v[27:28]
	flat_load_dword v7, v[29:30] offset:128
	;; [unrolled: 9-line block ×6, first 2 shown]
	s_waitcnt vmcnt(0) lgkmcnt(0)
	v_min_u32_e32 v15, v5, v7
	v_max_u32_e32 v5, v5, v7
	flat_store_dword v[11:12], v15
	flat_store_dword v[13:14], v5 offset:8
	s_waitcnt vmcnt(0) lgkmcnt(0)
	s_barrier
	flat_load_dwordx2 v[11:12], v[9:10]
	s_waitcnt vmcnt(0) lgkmcnt(0)
	v_min_u32_e32 v13, v11, v12
	v_max_u32_e32 v14, v11, v12
	flat_store_dwordx2 v[9:10], v[13:14]
	s_waitcnt vmcnt(0) lgkmcnt(0)
	s_barrier
	s_and_saveexec_b64 s[4:5], vcc
	s_cbranch_execz .LBB1_21
; %bb.19:
	s_mov_b64 s[8:9], 0
.LBB1_20:                               ; =>This Inner Loop Header: Depth=1
	v_add_u32_e32 v7, v4, v6
	v_lshlrev_b64 v[9:10], 2, v[7:8]
	v_add_u32_e32 v7, 0x80, v6
	v_add_co_u32_e32 v11, vcc, v0, v9
	v_addc_co_u32_e32 v12, vcc, v1, v10, vcc
	flat_load_dword v5, v[11:12]
	v_cmp_lt_u32_e32 vcc, s10, v6
	s_or_b64 s[8:9], vcc, s[8:9]
	v_add_co_u32_e32 v9, vcc, v2, v9
	v_mov_b32_e32 v6, v7
	v_addc_co_u32_e32 v10, vcc, v3, v10, vcc
	s_waitcnt vmcnt(0) lgkmcnt(0)
	flat_store_dword v[9:10], v5
	s_andn2_b64 exec, exec, s[8:9]
	s_cbranch_execnz .LBB1_20
.LBB1_21:
	s_or_b64 exec, exec, s[4:5]
	s_or_b64 exec, exec, s[6:7]
	s_waitcnt vmcnt(0) lgkmcnt(0)
	s_setpc_b64 s[30:31]
.Lfunc_end1:
	.size	_Z14sort_thresholdIjEvPT_S1_jjS1_j, .Lfunc_end1-_Z14sort_thresholdIjEvPT_S1_jjS1_j
                                        ; -- End function
	.set .L_Z14sort_thresholdIjEvPT_S1_jjS1_j.num_vgpr, 50
	.set .L_Z14sort_thresholdIjEvPT_S1_jjS1_j.num_agpr, 0
	.set .L_Z14sort_thresholdIjEvPT_S1_jjS1_j.numbered_sgpr, 32
	.set .L_Z14sort_thresholdIjEvPT_S1_jjS1_j.num_named_barrier, 0
	.set .L_Z14sort_thresholdIjEvPT_S1_jjS1_j.private_seg_size, 0
	.set .L_Z14sort_thresholdIjEvPT_S1_jjS1_j.uses_vcc, 1
	.set .L_Z14sort_thresholdIjEvPT_S1_jjS1_j.uses_flat_scratch, 0
	.set .L_Z14sort_thresholdIjEvPT_S1_jjS1_j.has_dyn_sized_stack, 0
	.set .L_Z14sort_thresholdIjEvPT_S1_jjS1_j.has_recursion, 0
	.set .L_Z14sort_thresholdIjEvPT_S1_jjS1_j.has_indirect_call, 0
	.section	.AMDGPU.csdata,"",@progbits
; Function info:
; codeLenInByte = 4760
; TotalNumSgprs: 36
; NumVgprs: 50
; ScratchSize: 0
; MemoryBound: 0
	.section	.text._Z13lqsort_kernelIjEvPT_S1_P11work_recordIS0_E,"axG",@progbits,_Z13lqsort_kernelIjEvPT_S1_P11work_recordIS0_E,comdat
	.protected	_Z13lqsort_kernelIjEvPT_S1_P11work_recordIS0_E ; -- Begin function _Z13lqsort_kernelIjEvPT_S1_P11work_recordIS0_E
	.globl	_Z13lqsort_kernelIjEvPT_S1_P11work_recordIS0_E
	.p2align	8
	.type	_Z13lqsort_kernelIjEvPT_S1_P11work_recordIS0_E,@function
_Z13lqsort_kernelIjEvPT_S1_P11work_recordIS0_E: ; @_Z13lqsort_kernelIjEvPT_S1_P11work_recordIS0_E
; %bb.0:
	s_mov_b64 s[16:17], s[4:5]
	s_load_dwordx2 s[4:5], s[4:5], 0x10
	s_add_u32 s0, s0, s7
	s_mov_b32 s7, 0
	s_addc_u32 s1, s1, 0
	s_lshl_b64 s[6:7], s[6:7], 4
	s_load_dwordx4 s[40:43], s[16:17], 0x0
	s_waitcnt lgkmcnt(0)
	s_add_u32 s4, s4, s6
	v_mov_b32_e32 v42, v0
	s_addc_u32 s5, s5, s7
	v_mov_b32_e32 v0, 0
	global_load_dwordx2 v[45:46], v0, s[4:5]
	global_load_dword v3, v0, s[4:5] offset:12
	v_cmp_eq_u32_e64 s[18:19], 0, v42
	s_movk_i32 s32, 0x800
	s_waitcnt vmcnt(1)
	v_sub_u32_e32 v1, v46, v45
	s_and_saveexec_b64 s[4:5], s[18:19]
	s_cbranch_execz .LBB2_2
; %bb.1:
	v_mov_b32_e32 v2, 1
	ds_write_b32 v0, v0 offset:15364
	ds_write_b96 v0, v[0:2] offset:15904
.LBB2_2:
	s_or_b64 exec, exec, s[4:5]
	s_waitcnt vmcnt(0)
	v_cmp_eq_u32_e32 vcc, 1, v3
	v_cmp_lt_u32_e64 s[4:5], v42, v1
	s_mov_b64 s[6:7], -1
	s_cbranch_vccnz .LBB2_7
; %bb.3:
	s_and_saveexec_b64 s[6:7], s[4:5]
	s_cbranch_execz .LBB2_6
; %bb.4:
	v_lshlrev_b32_e32 v0, 2, v42
	s_mov_b64 s[8:9], 0
	v_mov_b32_e32 v3, 0
	v_mov_b32_e32 v4, s43
	;; [unrolled: 1-line block ×3, first 2 shown]
.LBB2_5:                                ; =>This Inner Loop Header: Depth=1
	v_add_u32_e32 v2, v45, v5
	v_lshlrev_b64 v[6:7], 2, v[2:3]
	v_add_u32_e32 v5, 0x80, v5
	v_add_co_u32_e32 v6, vcc, s42, v6
	v_addc_co_u32_e32 v7, vcc, v4, v7, vcc
	global_load_dword v2, v[6:7], off
	v_cmp_ge_u32_e32 vcc, v5, v1
	s_or_b64 s[8:9], vcc, s[8:9]
	s_waitcnt vmcnt(0)
	ds_write_b32 v0, v2
	v_add_u32_e32 v0, 0x200, v0
	s_andn2_b64 exec, exec, s[8:9]
	s_cbranch_execnz .LBB2_5
.LBB2_6:
	s_or_b64 exec, exec, s[6:7]
	s_mov_b64 s[6:7], 0
.LBB2_7:
	s_andn2_b64 vcc, exec, s[6:7]
	s_cbranch_vccnz .LBB2_12
; %bb.8:
	s_and_saveexec_b64 s[6:7], s[4:5]
	s_cbranch_execz .LBB2_11
; %bb.9:
	v_lshlrev_b32_e32 v0, 2, v42
	s_mov_b64 s[4:5], 0
	v_mov_b32_e32 v3, 0
	v_mov_b32_e32 v4, s41
	v_mov_b32_e32 v5, v42
.LBB2_10:                               ; =>This Inner Loop Header: Depth=1
	v_add_u32_e32 v2, v45, v5
	v_lshlrev_b64 v[6:7], 2, v[2:3]
	v_add_u32_e32 v5, 0x80, v5
	v_add_co_u32_e32 v6, vcc, s40, v6
	v_addc_co_u32_e32 v7, vcc, v4, v7, vcc
	global_load_dword v2, v[6:7], off
	v_cmp_ge_u32_e32 vcc, v5, v1
	s_or_b64 s[4:5], vcc, s[4:5]
	s_waitcnt vmcnt(0)
	ds_write_b32 v0, v2
	v_add_u32_e32 v0, 0x200, v0
	s_andn2_b64 exec, exec, s[4:5]
	s_cbranch_execnz .LBB2_10
.LBB2_11:
	s_or_b64 exec, exec, s[6:7]
.LBB2_12:
	v_mov_b32_e32 v47, 0
	s_waitcnt lgkmcnt(0)
	s_barrier
	ds_read_b32 v0, v47 offset:15364
	s_waitcnt lgkmcnt(0)
	v_cmp_gt_i32_e32 vcc, 0, v0
	s_cbranch_vccnz .LBB2_75
; %bb.13:
	v_mov_b32_e32 v46, v47
	v_lshlrev_b64 v[1:2], 2, v[45:46]
	v_mov_b32_e32 v4, s41
	v_add_co_u32_e32 v1, vcc, s40, v1
	buffer_store_dword v1, off, s[0:3], 0   ; 4-byte Folded Spill
	v_addc_co_u32_e32 v1, vcc, v4, v2, vcc
	v_lshlrev_b32_e32 v3, 2, v42
	buffer_store_dword v1, off, s[0:3], 0 offset:4 ; 4-byte Folded Spill
	v_and_b32_e32 v1, 1, v42
	v_cmp_eq_u32_e64 s[20:21], 1, v1
	v_add_u32_e32 v1, 0x3c0c, v3
	buffer_store_dword v1, off, s[0:3], 0 offset:8 ; 4-byte Folded Spill
	v_add_u32_e32 v1, 0x39fc, v3
	buffer_store_dword v1, off, s[0:3], 0 offset:12 ; 4-byte Folded Spill
	v_and_b32_e32 v1, 3, v42
	v_cmp_eq_u32_e64 s[22:23], 3, v1
	v_add_u32_e32 v1, 0x3c08, v3
	buffer_store_dword v1, off, s[0:3], 0 offset:16 ; 4-byte Folded Spill
	v_and_b32_e32 v1, 7, v42
	v_cmp_eq_u32_e64 s[24:25], 7, v1
	v_and_b32_e32 v1, 15, v42
	v_cmp_eq_u32_e64 s[26:27], 15, v1
	v_and_b32_e32 v1, 31, v42
	s_movk_i32 s4, 0x3c00
	v_cmp_eq_u32_e64 s[28:29], 31, v1
	v_and_b32_e32 v1, 63, v42
	v_cmp_eq_u32_e64 s[34:35], 63, v1
	s_movk_i32 s5, 0x7f
	v_and_b32_e32 v1, 0x7f, v42
	v_add_u32_e64 v52, s4, 0
	s_movk_i32 s4, 0x3800
	s_mov_b64 s[38:39], src_shared_base
	v_add_u32_e32 v50, 0x3a00, v3
	v_add_u32_e32 v51, 0x3c10, v3
	;; [unrolled: 1-line block ×11, first 2 shown]
	v_cmp_eq_u32_e64 s[36:37], s5, v1
	v_add_u32_e32 v43, 0x3b10, v3
	v_add_u32_e32 v44, 0x3900, v3
	s_movk_i32 s15, 0x100
	v_add_u32_e64 v53, s4, 0
	s_branch .LBB2_15
.LBB2_14:                               ;   in Loop: Header=BB2_15 Depth=1
	ds_read_b32 v0, v47 offset:15364
	s_waitcnt lgkmcnt(0)
	v_cmp_lt_i32_e32 vcc, -1, v0
	s_cbranch_vccz .LBB2_75
.LBB2_15:                               ; =>This Loop Header: Depth=1
                                        ;     Child Loop BB2_21 Depth 2
                                        ;     Child Loop BB2_56 Depth 2
	;; [unrolled: 1-line block ×3, first 2 shown]
	v_mul_lo_u32 v0, v0, 12
	v_add_u32_e32 v1, 0x3e20, v0
	ds_read2_b32 v[40:41], v1 offset1:1
	ds_read_b32 v54, v0 offset:15912
	s_waitcnt vmcnt(0) lgkmcnt(0)
	s_barrier
	s_and_saveexec_b64 s[4:5], s[18:19]
	s_cbranch_execz .LBB2_17
; %bb.16:                               ;   in Loop: Header=BB2_15 Depth=1
	ds_read_b32 v0, v47 offset:15364
	s_waitcnt lgkmcnt(0)
	v_add_u32_e32 v0, -1, v0
	ds_write2_b32 v52, v0, v47 offset0:1 offset1:133
	ds_write_b32 v47, v47 offset:15976
.LBB2_17:                               ;   in Loop: Header=BB2_15 Depth=1
	s_or_b64 exec, exec, s[4:5]
	v_cmp_eq_u32_e32 vcc, 1, v54
	v_mov_b32_e32 v2, 0x1b00
	v_cndmask_b32_e64 v0, v2, 0, vcc
	v_mov_b32_e32 v1, s39
	v_cndmask_b32_e32 v2, 0, v2, vcc
	v_mov_b32_e32 v3, s39
	ds_write2_b64 v53, v[0:1], v[2:3] offset0:129 offset1:195
	ds_write_b32 v50, v47
	ds_write_b32 v51, v47
	s_waitcnt lgkmcnt(0)
	s_barrier
	ds_read_b64 v[0:1], v47 offset:15368
	v_mov_b32_e32 v46, v40
	v_lshlrev_b64 v[2:3], 2, v[46:47]
	s_waitcnt lgkmcnt(0)
	v_add_co_u32_e32 v2, vcc, v0, v2
	v_addc_co_u32_e32 v3, vcc, v1, v3, vcc
	flat_load_dword v8, v[2:3]
	v_cmp_ge_u32_e32 vcc, v40, v41
	s_cbranch_vccnz .LBB2_19
; %bb.18:                               ;   in Loop: Header=BB2_15 Depth=1
	v_add_u32_e32 v2, v41, v40
	v_lshrrev_b32_e32 v46, 1, v2
	v_lshlrev_b64 v[2:3], 2, v[46:47]
	v_add_u32_e32 v46, -1, v41
	v_add_co_u32_e32 v2, vcc, v0, v2
	v_addc_co_u32_e32 v3, vcc, v1, v3, vcc
	flat_load_dword v4, v[2:3]
	v_lshlrev_b64 v[2:3], 2, v[46:47]
	v_add_co_u32_e32 v2, vcc, v0, v2
	v_addc_co_u32_e32 v3, vcc, v1, v3, vcc
	flat_load_dword v2, v[2:3]
	s_waitcnt vmcnt(0) lgkmcnt(0)
	v_max_u32_e32 v3, v8, v4
	v_min_u32_e32 v4, v8, v4
	v_max_u32_e32 v4, v4, v2
	v_cmp_lt_u32_e32 vcc, v3, v2
	v_cndmask_b32_e32 v8, v4, v3, vcc
.LBB2_19:                               ;   in Loop: Header=BB2_15 Depth=1
	v_add_u32_e32 v9, v40, v42
	v_cmp_lt_u32_e32 vcc, v9, v41
	v_mov_b32_e32 v2, 0
	v_mov_b32_e32 v3, 0
	s_and_saveexec_b64 s[6:7], vcc
	s_cbranch_execz .LBB2_23
; %bb.20:                               ;   in Loop: Header=BB2_15 Depth=1
	v_mov_b32_e32 v2, 0
	s_mov_b64 s[8:9], 0
	v_mov_b32_e32 v46, v9
	v_mov_b32_e32 v3, 0
.LBB2_21:                               ;   Parent Loop BB2_15 Depth=1
                                        ; =>  This Inner Loop Header: Depth=2
	v_lshlrev_b64 v[4:5], 2, v[46:47]
	v_add_u32_e32 v46, 0x80, v46
	v_add_co_u32_e64 v4, s[4:5], v0, v4
	v_addc_co_u32_e64 v5, s[4:5], v1, v5, s[4:5]
	flat_load_dword v4, v[4:5]
	v_cmp_ge_u32_e64 s[4:5], v46, v41
	s_or_b64 s[8:9], s[4:5], s[8:9]
	s_waitcnt vmcnt(0) lgkmcnt(0)
	v_cmp_lt_u32_e64 s[4:5], v4, v8
	v_addc_co_u32_e64 v2, s[4:5], 0, v2, s[4:5]
	v_cmp_gt_u32_e64 s[4:5], v4, v8
	v_addc_co_u32_e64 v3, s[4:5], 0, v3, s[4:5]
	s_andn2_b64 exec, exec, s[8:9]
	s_cbranch_execnz .LBB2_21
; %bb.22:                               ;   in Loop: Header=BB2_15 Depth=1
	s_or_b64 exec, exec, s[8:9]
.LBB2_23:                               ;   in Loop: Header=BB2_15 Depth=1
	s_or_b64 exec, exec, s[6:7]
	ds_write_b32 v51, v2
	ds_write_b32 v50, v3
	s_waitcnt vmcnt(0) lgkmcnt(0)
	s_barrier
	s_and_saveexec_b64 s[4:5], s[20:21]
	s_cbranch_execz .LBB2_25
; %bb.24:                               ;   in Loop: Header=BB2_15 Depth=1
	buffer_load_dword v0, off, s[0:3], 0 offset:8 ; 4-byte Folded Reload
	buffer_load_dword v2, off, s[0:3], 0 offset:12 ; 4-byte Folded Reload
	s_waitcnt vmcnt(1)
	ds_read2_b32 v[0:1], v0 offset1:1
	s_waitcnt vmcnt(0)
	ds_read2_b32 v[2:3], v2 offset1:1
	s_waitcnt lgkmcnt(1)
	v_add_u32_e32 v0, v1, v0
	s_waitcnt lgkmcnt(0)
	v_add_u32_e32 v1, v3, v2
	ds_write_b32 v51, v0
	ds_write_b32 v50, v1
.LBB2_25:                               ;   in Loop: Header=BB2_15 Depth=1
	s_or_b64 exec, exec, s[4:5]
	s_waitcnt lgkmcnt(0)
	s_barrier
	s_and_saveexec_b64 s[4:5], s[22:23]
	s_cbranch_execz .LBB2_27
; %bb.26:                               ;   in Loop: Header=BB2_15 Depth=1
	buffer_load_dword v0, off, s[0:3], 0 offset:16 ; 4-byte Folded Reload
	s_waitcnt vmcnt(0)
	ds_read_b32 v0, v0
	ds_read_b32 v1, v55
	;; [unrolled: 1-line block ×4, first 2 shown]
	s_waitcnt lgkmcnt(1)
	v_add_u32_e32 v0, v2, v0
	s_waitcnt lgkmcnt(0)
	v_add_u32_e32 v1, v3, v1
	ds_write_b32 v51, v0
	ds_write_b32 v50, v1
.LBB2_27:                               ;   in Loop: Header=BB2_15 Depth=1
	s_or_b64 exec, exec, s[4:5]
	s_waitcnt lgkmcnt(0)
	s_barrier
	s_and_saveexec_b64 s[4:5], s[24:25]
	s_cbranch_execz .LBB2_29
; %bb.28:                               ;   in Loop: Header=BB2_15 Depth=1
	ds_read_b32 v0, v56
	ds_read_b32 v1, v57
	ds_read_b32 v2, v51
	ds_read_b32 v3, v50
	s_waitcnt lgkmcnt(1)
	v_add_u32_e32 v0, v2, v0
	s_waitcnt lgkmcnt(0)
	v_add_u32_e32 v1, v3, v1
	ds_write_b32 v51, v0
	ds_write_b32 v50, v1
.LBB2_29:                               ;   in Loop: Header=BB2_15 Depth=1
	s_or_b64 exec, exec, s[4:5]
	s_waitcnt lgkmcnt(0)
	s_barrier
	s_and_saveexec_b64 s[4:5], s[26:27]
	s_cbranch_execz .LBB2_31
; %bb.30:                               ;   in Loop: Header=BB2_15 Depth=1
	ds_read_b32 v0, v58
	ds_read_b32 v1, v59
	ds_read_b32 v2, v51
	ds_read_b32 v3, v50
	s_waitcnt lgkmcnt(1)
	v_add_u32_e32 v0, v2, v0
	s_waitcnt lgkmcnt(0)
	v_add_u32_e32 v1, v3, v1
	ds_write_b32 v51, v0
	ds_write_b32 v50, v1
.LBB2_31:                               ;   in Loop: Header=BB2_15 Depth=1
	;; [unrolled: 17-line block ×5, first 2 shown]
	s_or_b64 exec, exec, s[4:5]
	s_waitcnt lgkmcnt(0)
	s_barrier
	s_and_saveexec_b64 s[4:5], s[36:37]
	s_cbranch_execz .LBB2_39
; %bb.38:                               ;   in Loop: Header=BB2_15 Depth=1
	ds_read_b32 v0, v51
	ds_read_b32 v1, v50
	s_waitcnt lgkmcnt(1)
	ds_write_b32 v47, v0 offset:15976
	s_waitcnt lgkmcnt(1)
	ds_write_b64 v47, v[0:1] offset:15888
	ds_write_b32 v47, v1 offset:15360
	ds_write_b32 v51, v47
	ds_write_b32 v50, v47
.LBB2_39:                               ;   in Loop: Header=BB2_15 Depth=1
	s_or_b64 exec, exec, s[4:5]
	s_and_saveexec_b64 s[4:5], s[36:37]
	s_cbranch_execz .LBB2_41
; %bb.40:                               ;   in Loop: Header=BB2_15 Depth=1
	ds_read_b32 v0, v44
	ds_read_b32 v1, v51
	ds_read_b32 v2, v43
	ds_read_b32 v3, v50
	s_waitcnt lgkmcnt(2)
	ds_write_b32 v43, v1
	s_waitcnt lgkmcnt(2)
	v_add_u32_e32 v1, v1, v2
	s_waitcnt lgkmcnt(1)
	v_add_u32_e32 v0, v3, v0
	ds_write_b32 v51, v1
	ds_write_b32 v44, v3
	ds_write_b32 v50, v0
.LBB2_41:                               ;   in Loop: Header=BB2_15 Depth=1
	s_or_b64 exec, exec, s[4:5]
	s_waitcnt lgkmcnt(0)
	s_barrier
	s_and_saveexec_b64 s[4:5], s[34:35]
	s_cbranch_execz .LBB2_43
; %bb.42:                               ;   in Loop: Header=BB2_15 Depth=1
	ds_read_b32 v0, v63
	ds_read_b32 v1, v51
	ds_read_b32 v2, v62
	ds_read_b32 v3, v50
	s_waitcnt lgkmcnt(2)
	ds_write_b32 v62, v1
	s_waitcnt lgkmcnt(2)
	v_add_u32_e32 v1, v1, v2
	s_waitcnt lgkmcnt(1)
	v_add_u32_e32 v0, v3, v0
	ds_write_b32 v51, v1
	ds_write_b32 v63, v3
	ds_write_b32 v50, v0
.LBB2_43:                               ;   in Loop: Header=BB2_15 Depth=1
	s_or_b64 exec, exec, s[4:5]
	s_waitcnt lgkmcnt(0)
	s_barrier
	;; [unrolled: 20-line block ×5, first 2 shown]
	s_and_saveexec_b64 s[4:5], s[22:23]
	s_cbranch_execz .LBB2_51
; %bb.50:                               ;   in Loop: Header=BB2_15 Depth=1
	ds_read_b32 v0, v55
	ds_read_b32 v1, v51
	buffer_load_dword v4, off, s[0:3], 0 offset:16 ; 4-byte Folded Reload
	s_waitcnt vmcnt(0)
	ds_read_b32 v2, v4
	ds_read_b32 v3, v50
	s_waitcnt lgkmcnt(2)
	ds_write_b32 v4, v1
	s_waitcnt lgkmcnt(2)
	v_add_u32_e32 v1, v1, v2
	s_waitcnt lgkmcnt(1)
	v_add_u32_e32 v0, v3, v0
	ds_write_b32 v51, v1
	ds_write_b32 v55, v3
	ds_write_b32 v50, v0
.LBB2_51:                               ;   in Loop: Header=BB2_15 Depth=1
	s_or_b64 exec, exec, s[4:5]
	s_waitcnt lgkmcnt(0)
	s_barrier
	s_and_saveexec_b64 s[4:5], s[20:21]
	s_cbranch_execz .LBB2_53
; %bb.52:                               ;   in Loop: Header=BB2_15 Depth=1
	buffer_load_dword v4, off, s[0:3], 0 offset:8 ; 4-byte Folded Reload
	buffer_load_dword v5, off, s[0:3], 0 offset:12 ; 4-byte Folded Reload
	s_waitcnt vmcnt(1)
	ds_read2_b32 v[0:1], v4 offset1:1
	s_waitcnt vmcnt(0)
	ds_read2_b32 v[2:3], v5 offset1:1
	s_waitcnt lgkmcnt(1)
	v_add_u32_e32 v0, v1, v0
	s_waitcnt lgkmcnt(0)
	v_add_u32_e32 v2, v3, v2
	ds_write2_b32 v4, v1, v0 offset1:1
	ds_write2_b32 v5, v3, v2 offset1:1
.LBB2_53:                               ;   in Loop: Header=BB2_15 Depth=1
	s_or_b64 exec, exec, s[4:5]
	s_waitcnt lgkmcnt(0)
	s_barrier
	s_and_saveexec_b64 s[4:5], vcc
	s_cbranch_execz .LBB2_60
; %bb.54:                               ;   in Loop: Header=BB2_15 Depth=1
	ds_read_b32 v4, v50 offset:4
	ds_read_b32 v5, v51
	ds_read2_b64 v[0:3], v53 offset0:129 offset1:195
	s_mov_b64 s[6:7], 0
	v_mov_b32_e32 v46, v9
	s_waitcnt lgkmcnt(2)
	v_sub_u32_e32 v4, v41, v4
	s_waitcnt lgkmcnt(1)
	v_add_u32_e32 v6, v5, v40
	s_branch .LBB2_56
.LBB2_55:                               ;   in Loop: Header=BB2_56 Depth=2
	s_or_b64 exec, exec, s[8:9]
	v_add_u32_e32 v46, 0x80, v46
	v_cmp_ge_u32_e32 vcc, v46, v41
	s_or_b64 s[6:7], vcc, s[6:7]
	s_andn2_b64 exec, exec, s[6:7]
	s_cbranch_execz .LBB2_60
.LBB2_56:                               ;   Parent Loop BB2_15 Depth=1
                                        ; =>  This Inner Loop Header: Depth=2
	v_lshlrev_b64 v[10:11], 2, v[46:47]
	s_waitcnt lgkmcnt(0)
	v_add_co_u32_e32 v10, vcc, v0, v10
	v_addc_co_u32_e32 v11, vcc, v1, v11, vcc
	flat_load_dword v10, v[10:11]
	s_waitcnt vmcnt(0) lgkmcnt(0)
	v_cmp_lt_u32_e32 vcc, v10, v8
	s_and_saveexec_b64 s[8:9], vcc
	s_cbranch_execz .LBB2_58
; %bb.57:                               ;   in Loop: Header=BB2_56 Depth=2
	v_mov_b32_e32 v7, v47
	v_add_u32_e32 v11, 1, v6
	v_lshlrev_b64 v[5:6], 2, v[6:7]
	v_add_co_u32_e32 v5, vcc, v2, v5
	v_addc_co_u32_e32 v6, vcc, v3, v6, vcc
	flat_store_dword v[5:6], v10
	v_mov_b32_e32 v6, v11
.LBB2_58:                               ;   in Loop: Header=BB2_56 Depth=2
	s_or_b64 exec, exec, s[8:9]
	v_cmp_gt_u32_e32 vcc, v10, v8
	s_and_saveexec_b64 s[8:9], vcc
	s_cbranch_execz .LBB2_55
; %bb.59:                               ;   in Loop: Header=BB2_56 Depth=2
	v_mov_b32_e32 v5, v47
	v_add_u32_e32 v7, 1, v4
	v_lshlrev_b64 v[4:5], 2, v[4:5]
	v_add_co_u32_e32 v4, vcc, v2, v4
	v_addc_co_u32_e32 v5, vcc, v3, v5, vcc
	flat_store_dword v[4:5], v10
	v_mov_b32_e32 v4, v7
	s_branch .LBB2_55
.LBB2_60:                               ;   in Loop: Header=BB2_15 Depth=1
	s_or_b64 exec, exec, s[4:5]
	s_waitcnt vmcnt(0) lgkmcnt(0)
	s_barrier
	ds_read2_b32 v[1:2], v52 offset0:133 offset1:154
	s_waitcnt lgkmcnt(0)
	v_add_u32_e32 v0, v9, v2
	v_sub_u32_e32 v1, v41, v1
	v_cmp_lt_u32_e32 vcc, v0, v1
	s_and_saveexec_b64 s[4:5], vcc
	s_cbranch_execz .LBB2_63
; %bb.61:                               ;   in Loop: Header=BB2_15 Depth=1
	s_mov_b64 s[6:7], 0
.LBB2_62:                               ;   Parent Loop BB2_15 Depth=1
                                        ; =>  This Inner Loop Header: Depth=2
	v_add_u32_e32 v46, v45, v0
	v_add_u32_e32 v0, 0x80, v0
	v_lshlrev_b64 v[2:3], 2, v[46:47]
	v_cmp_ge_u32_e32 vcc, v0, v1
	v_mov_b32_e32 v4, s41
	s_or_b64 s[6:7], vcc, s[6:7]
	v_add_co_u32_e32 v2, vcc, s40, v2
	v_addc_co_u32_e32 v3, vcc, v4, v3, vcc
	global_store_dword v[2:3], v8, off
	s_andn2_b64 exec, exec, s[6:7]
	s_cbranch_execnz .LBB2_62
.LBB2_63:                               ;   in Loop: Header=BB2_15 Depth=1
	s_or_b64 exec, exec, s[4:5]
	s_waitcnt vmcnt(0)
	s_barrier
	ds_read_b32 v2, v47 offset:15976
	s_mov_b64 s[4:5], -1
	s_waitcnt lgkmcnt(0)
	v_cmp_lt_u32_e32 vcc, s15, v2
	s_cbranch_vccz .LBB2_67
; %bb.64:                               ;   in Loop: Header=BB2_15 Depth=1
	s_and_saveexec_b64 s[4:5], s[18:19]
	s_cbranch_execz .LBB2_66
; %bb.65:                               ;   in Loop: Header=BB2_15 Depth=1
	ds_read_b32 v0, v47 offset:15364
	v_add_u32_e32 v1, v2, v40
	v_xor_b32_e32 v4, 1, v54
	s_waitcnt lgkmcnt(0)
	v_mul_lo_u32 v3, v0, 12
	v_add_u32_e32 v0, 1, v0
	ds_write_b32 v47, v0 offset:15364
	v_add_u32_e32 v0, 0x3e2c, v3
	ds_write2_b32 v0, v40, v1 offset1:1
	ds_write_b32 v3, v4 offset:15924
.LBB2_66:                               ;   in Loop: Header=BB2_15 Depth=1
	s_or_b64 exec, exec, s[4:5]
	s_mov_b64 s[4:5], 0
	s_waitcnt lgkmcnt(0)
	s_barrier
.LBB2_67:                               ;   in Loop: Header=BB2_15 Depth=1
	s_and_b64 vcc, exec, s[4:5]
	s_cbranch_vccz .LBB2_69
; %bb.68:                               ;   in Loop: Header=BB2_15 Depth=1
	ds_read_b64 v[0:1], v47 offset:15896
	v_add_u32_e32 v5, v2, v40
	buffer_load_dword v2, off, s[0:3], 0    ; 4-byte Folded Reload
	buffer_load_dword v3, off, s[0:3], 0 offset:4 ; 4-byte Folded Reload
	s_add_u32 s8, s16, 24
	s_addc_u32 s9, s17, 0
	s_getpc_b64 s[4:5]
	s_add_u32 s4, s4, _Z14sort_thresholdIjEvPT_S1_jjS1_j@rel32@lo+4
	s_addc_u32 s5, s5, _Z14sort_thresholdIjEvPT_S1_jjS1_j@rel32@hi+12
	v_mov_b32_e32 v4, v40
	v_mov_b32_e32 v6, v42
	s_swappc_b64 s[30:31], s[4:5]
.LBB2_69:                               ;   in Loop: Header=BB2_15 Depth=1
	ds_read_b32 v2, v47 offset:15892
	s_mov_b64 s[4:5], -1
	s_waitcnt lgkmcnt(0)
	v_cmp_lt_u32_e32 vcc, s15, v2
	s_cbranch_vccnz .LBB2_71
; %bb.70:                               ;   in Loop: Header=BB2_15 Depth=1
	s_and_b64 vcc, exec, s[4:5]
	s_cbranch_vccz .LBB2_14
	s_branch .LBB2_74
.LBB2_71:                               ;   in Loop: Header=BB2_15 Depth=1
	s_and_saveexec_b64 s[4:5], s[18:19]
	s_cbranch_execz .LBB2_73
; %bb.72:                               ;   in Loop: Header=BB2_15 Depth=1
	ds_read_b32 v0, v47 offset:15364
	v_sub_u32_e32 v1, v41, v2
	v_xor_b32_e32 v4, 1, v54
	s_waitcnt lgkmcnt(0)
	v_mul_lo_u32 v3, v0, 12
	v_add_u32_e32 v0, 1, v0
	ds_write_b32 v47, v0 offset:15364
	v_add_u32_e32 v0, 0x3e2c, v3
	ds_write2_b32 v0, v1, v41 offset1:1
	ds_write_b32 v3, v4 offset:15924
.LBB2_73:                               ;   in Loop: Header=BB2_15 Depth=1
	s_or_b64 exec, exec, s[4:5]
	s_waitcnt lgkmcnt(0)
	s_barrier
	s_branch .LBB2_14
.LBB2_74:                               ;   in Loop: Header=BB2_15 Depth=1
	ds_read_b64 v[0:1], v47 offset:15896
	v_sub_u32_e32 v4, v41, v2
	buffer_load_dword v2, off, s[0:3], 0    ; 4-byte Folded Reload
	buffer_load_dword v3, off, s[0:3], 0 offset:4 ; 4-byte Folded Reload
	s_add_u32 s8, s16, 24
	s_addc_u32 s9, s17, 0
	s_getpc_b64 s[4:5]
	s_add_u32 s4, s4, _Z14sort_thresholdIjEvPT_S1_jjS1_j@rel32@lo+4
	s_addc_u32 s5, s5, _Z14sort_thresholdIjEvPT_S1_jjS1_j@rel32@hi+12
	v_mov_b32_e32 v5, v41
	v_mov_b32_e32 v6, v42
	s_swappc_b64 s[30:31], s[4:5]
	s_branch .LBB2_14
.LBB2_75:
	s_endpgm
	.section	.rodata,"a",@progbits
	.p2align	6, 0x0
	.amdhsa_kernel _Z13lqsort_kernelIjEvPT_S1_P11work_recordIS0_E
		.amdhsa_group_segment_fixed_size 15984
		.amdhsa_private_segment_fixed_size 32
		.amdhsa_kernarg_size 280
		.amdhsa_user_sgpr_count 6
		.amdhsa_user_sgpr_private_segment_buffer 1
		.amdhsa_user_sgpr_dispatch_ptr 0
		.amdhsa_user_sgpr_queue_ptr 0
		.amdhsa_user_sgpr_kernarg_segment_ptr 1
		.amdhsa_user_sgpr_dispatch_id 0
		.amdhsa_user_sgpr_flat_scratch_init 0
		.amdhsa_user_sgpr_private_segment_size 0
		.amdhsa_uses_dynamic_stack 0
		.amdhsa_system_sgpr_private_segment_wavefront_offset 1
		.amdhsa_system_sgpr_workgroup_id_x 1
		.amdhsa_system_sgpr_workgroup_id_y 0
		.amdhsa_system_sgpr_workgroup_id_z 0
		.amdhsa_system_sgpr_workgroup_info 0
		.amdhsa_system_vgpr_workitem_id 0
		.amdhsa_next_free_vgpr 64
		.amdhsa_next_free_sgpr 61
		.amdhsa_reserve_vcc 1
		.amdhsa_reserve_flat_scratch 0
		.amdhsa_float_round_mode_32 0
		.amdhsa_float_round_mode_16_64 0
		.amdhsa_float_denorm_mode_32 3
		.amdhsa_float_denorm_mode_16_64 3
		.amdhsa_dx10_clamp 1
		.amdhsa_ieee_mode 1
		.amdhsa_fp16_overflow 0
		.amdhsa_exception_fp_ieee_invalid_op 0
		.amdhsa_exception_fp_denorm_src 0
		.amdhsa_exception_fp_ieee_div_zero 0
		.amdhsa_exception_fp_ieee_overflow 0
		.amdhsa_exception_fp_ieee_underflow 0
		.amdhsa_exception_fp_ieee_inexact 0
		.amdhsa_exception_int_div_zero 0
	.end_amdhsa_kernel
	.section	.text._Z13lqsort_kernelIjEvPT_S1_P11work_recordIS0_E,"axG",@progbits,_Z13lqsort_kernelIjEvPT_S1_P11work_recordIS0_E,comdat
.Lfunc_end2:
	.size	_Z13lqsort_kernelIjEvPT_S1_P11work_recordIS0_E, .Lfunc_end2-_Z13lqsort_kernelIjEvPT_S1_P11work_recordIS0_E
                                        ; -- End function
	.set _Z13lqsort_kernelIjEvPT_S1_P11work_recordIS0_E.num_vgpr, max(64, .L_Z14sort_thresholdIjEvPT_S1_jjS1_j.num_vgpr)
	.set _Z13lqsort_kernelIjEvPT_S1_P11work_recordIS0_E.num_agpr, max(0, .L_Z14sort_thresholdIjEvPT_S1_jjS1_j.num_agpr)
	.set _Z13lqsort_kernelIjEvPT_S1_P11work_recordIS0_E.numbered_sgpr, max(44, .L_Z14sort_thresholdIjEvPT_S1_jjS1_j.numbered_sgpr)
	.set _Z13lqsort_kernelIjEvPT_S1_P11work_recordIS0_E.num_named_barrier, max(0, .L_Z14sort_thresholdIjEvPT_S1_jjS1_j.num_named_barrier)
	.set _Z13lqsort_kernelIjEvPT_S1_P11work_recordIS0_E.private_seg_size, 32+max(.L_Z14sort_thresholdIjEvPT_S1_jjS1_j.private_seg_size)
	.set _Z13lqsort_kernelIjEvPT_S1_P11work_recordIS0_E.uses_vcc, or(1, .L_Z14sort_thresholdIjEvPT_S1_jjS1_j.uses_vcc)
	.set _Z13lqsort_kernelIjEvPT_S1_P11work_recordIS0_E.uses_flat_scratch, or(0, .L_Z14sort_thresholdIjEvPT_S1_jjS1_j.uses_flat_scratch)
	.set _Z13lqsort_kernelIjEvPT_S1_P11work_recordIS0_E.has_dyn_sized_stack, or(0, .L_Z14sort_thresholdIjEvPT_S1_jjS1_j.has_dyn_sized_stack)
	.set _Z13lqsort_kernelIjEvPT_S1_P11work_recordIS0_E.has_recursion, or(0, .L_Z14sort_thresholdIjEvPT_S1_jjS1_j.has_recursion)
	.set _Z13lqsort_kernelIjEvPT_S1_P11work_recordIS0_E.has_indirect_call, or(0, .L_Z14sort_thresholdIjEvPT_S1_jjS1_j.has_indirect_call)
	.section	.AMDGPU.csdata,"",@progbits
; Kernel info:
; codeLenInByte = 3332
; TotalNumSgprs: 48
; NumVgprs: 64
; ScratchSize: 32
; MemoryBound: 0
; FloatMode: 240
; IeeeMode: 1
; LDSByteSize: 15984 bytes/workgroup (compile time only)
; SGPRBlocks: 8
; VGPRBlocks: 15
; NumSGPRsForWavesPerEU: 65
; NumVGPRsForWavesPerEU: 64
; Occupancy: 4
; WaveLimiterHint : 1
; COMPUTE_PGM_RSRC2:SCRATCH_EN: 1
; COMPUTE_PGM_RSRC2:USER_SGPR: 6
; COMPUTE_PGM_RSRC2:TRAP_HANDLER: 0
; COMPUTE_PGM_RSRC2:TGID_X_EN: 1
; COMPUTE_PGM_RSRC2:TGID_Y_EN: 0
; COMPUTE_PGM_RSRC2:TGID_Z_EN: 0
; COMPUTE_PGM_RSRC2:TIDIG_COMP_CNT: 0
	.section	.text._Z13gqsort_kernelIfEvPT_S1_P12block_recordIS0_EP13parent_recordP11work_recordIS0_E,"axG",@progbits,_Z13gqsort_kernelIfEvPT_S1_P12block_recordIS0_EP13parent_recordP11work_recordIS0_E,comdat
	.protected	_Z13gqsort_kernelIfEvPT_S1_P12block_recordIS0_EP13parent_recordP11work_recordIS0_E ; -- Begin function _Z13gqsort_kernelIfEvPT_S1_P12block_recordIS0_EP13parent_recordP11work_recordIS0_E
	.globl	_Z13gqsort_kernelIfEvPT_S1_P12block_recordIS0_EP13parent_recordP11work_recordIS0_E
	.p2align	8
	.type	_Z13gqsort_kernelIfEvPT_S1_P12block_recordIS0_EP13parent_recordP11work_recordIS0_E,@function
_Z13gqsort_kernelIfEvPT_S1_P12block_recordIS0_EP13parent_recordP11work_recordIS0_E: ; @_Z13gqsort_kernelIfEvPT_S1_P12block_recordIS0_EP13parent_recordP11work_recordIS0_E
; %bb.0:
	s_load_dwordx8 s[16:23], s[4:5], 0x0
	s_mul_i32 s0, s6, 20
	s_mul_hi_u32 s1, s6, 20
	v_lshlrev_b32_e32 v4, 2, v0
	v_mov_b32_e32 v5, 0
	s_waitcnt lgkmcnt(0)
	s_add_u32 s0, s20, s0
	s_addc_u32 s1, s21, s1
	s_load_dwordx4 s[24:27], s[0:1], 0x0
	s_load_dwordx2 s[20:21], s[4:5], 0x20
	s_load_dword s34, s[0:1], 0x10
	v_mov_b32_e32 v6, 0
	ds_write2_b32 v4, v5, v5 offset1:132
	s_waitcnt lgkmcnt(0)
	s_cmp_eq_u32 s27, 1
	s_cselect_b64 s[28:29], -1, 0
	s_and_b64 s[0:1], s[28:29], exec
	v_add_u32_e32 v1, s24, v0
	s_cselect_b32 s33, s17, s19
	s_cselect_b32 s7, s16, s18
	v_cmp_gt_u32_e32 vcc, s25, v1
	s_barrier
	s_and_saveexec_b64 s[2:3], vcc
	s_cbranch_execz .LBB3_4
; %bb.1:
	v_mov_b32_e32 v3, 0
	s_mov_b64 s[4:5], 0
	v_mov_b32_e32 v7, s33
	v_mov_b32_e32 v2, v1
	;; [unrolled: 1-line block ×4, first 2 shown]
.LBB3_2:                                ; =>This Inner Loop Header: Depth=1
	v_lshlrev_b64 v[8:9], 2, v[2:3]
	v_add_u32_e32 v2, 0x80, v2
	v_add_co_u32_e64 v8, s[0:1], s7, v8
	v_addc_co_u32_e64 v9, s[0:1], v7, v9, s[0:1]
	global_load_dword v8, v[8:9], off
	v_cmp_le_u32_e64 s[0:1], s25, v2
	s_or_b64 s[4:5], s[0:1], s[4:5]
	s_waitcnt vmcnt(0)
	v_cvt_u32_f32_e32 v8, v8
	v_cvt_f32_u32_e32 v8, v8
	v_cmp_gt_f32_e64 s[0:1], s26, v8
	v_addc_co_u32_e64 v5, s[0:1], 0, v5, s[0:1]
	v_cmp_lt_f32_e64 s[0:1], s26, v8
	v_addc_co_u32_e64 v6, s[0:1], 0, v6, s[0:1]
	s_andn2_b64 exec, exec, s[4:5]
	s_cbranch_execnz .LBB3_2
; %bb.3:
	s_or_b64 exec, exec, s[4:5]
.LBB3_4:
	s_or_b64 exec, exec, s[2:3]
	v_add_u32_e32 v3, 0x210, v4
	v_and_b32_e32 v2, 1, v0
	ds_write_b32 v3, v5
	ds_write_b32 v4, v6
	v_cmp_eq_u32_e64 s[0:1], 1, v2
	v_add_u32_e32 v2, -4, v3
	v_add_u32_e32 v5, -4, v4
	s_waitcnt lgkmcnt(0)
	s_barrier
	s_and_saveexec_b64 s[2:3], s[0:1]
	s_cbranch_execz .LBB3_6
; %bb.5:
	ds_read2_b32 v[6:7], v2 offset1:1
	ds_read2_b32 v[8:9], v5 offset1:1
	s_waitcnt lgkmcnt(1)
	v_add_u32_e32 v6, v7, v6
	s_waitcnt lgkmcnt(0)
	v_add_u32_e32 v7, v9, v8
	ds_write_b32 v3, v6
	ds_write_b32 v4, v7
.LBB3_6:
	s_or_b64 exec, exec, s[2:3]
	v_and_b32_e32 v6, 3, v0
	v_cmp_eq_u32_e64 s[2:3], 3, v6
	v_add_u32_e32 v7, -8, v3
	v_add_u32_e32 v6, -8, v4
	s_waitcnt lgkmcnt(0)
	s_barrier
	s_and_saveexec_b64 s[4:5], s[2:3]
	s_cbranch_execz .LBB3_8
; %bb.7:
	ds_read_b32 v8, v7
	ds_read_b32 v9, v6
	;; [unrolled: 1-line block ×4, first 2 shown]
	s_waitcnt lgkmcnt(1)
	v_add_u32_e32 v8, v10, v8
	s_waitcnt lgkmcnt(0)
	v_add_u32_e32 v9, v11, v9
	ds_write_b32 v3, v8
	ds_write_b32 v4, v9
.LBB3_8:
	s_or_b64 exec, exec, s[4:5]
	v_and_b32_e32 v8, 7, v0
	v_cmp_eq_u32_e64 s[4:5], 7, v8
	v_add_u32_e32 v9, -16, v3
	v_add_u32_e32 v8, -16, v4
	s_waitcnt lgkmcnt(0)
	s_barrier
	s_and_saveexec_b64 s[8:9], s[4:5]
	s_cbranch_execz .LBB3_10
; %bb.9:
	ds_read_b32 v10, v9
	ds_read_b32 v11, v8
	ds_read_b32 v12, v3
	ds_read_b32 v13, v4
	s_waitcnt lgkmcnt(1)
	v_add_u32_e32 v10, v12, v10
	s_waitcnt lgkmcnt(0)
	v_add_u32_e32 v11, v13, v11
	ds_write_b32 v3, v10
	ds_write_b32 v4, v11
.LBB3_10:
	s_or_b64 exec, exec, s[8:9]
	v_and_b32_e32 v10, 15, v0
	v_cmp_eq_u32_e64 s[14:15], 15, v10
	v_subrev_u32_e32 v11, 32, v3
	v_subrev_u32_e32 v10, 32, v4
	s_waitcnt lgkmcnt(0)
	s_barrier
	s_and_saveexec_b64 s[8:9], s[14:15]
	s_cbranch_execz .LBB3_12
; %bb.11:
	ds_read_b32 v12, v11
	ds_read_b32 v13, v10
	;; [unrolled: 1-line block ×4, first 2 shown]
	s_waitcnt lgkmcnt(1)
	v_add_u32_e32 v12, v14, v12
	s_waitcnt lgkmcnt(0)
	v_add_u32_e32 v13, v15, v13
	ds_write_b32 v3, v12
	ds_write_b32 v4, v13
.LBB3_12:
	s_or_b64 exec, exec, s[8:9]
	v_and_b32_e32 v12, 31, v0
	v_cmp_eq_u32_e64 s[8:9], 31, v12
	v_subrev_u32_e32 v13, 64, v3
	v_subrev_u32_e32 v12, 64, v4
	s_waitcnt lgkmcnt(0)
	s_barrier
	s_and_saveexec_b64 s[10:11], s[8:9]
	s_cbranch_execz .LBB3_14
; %bb.13:
	ds_read_b32 v14, v13
	ds_read_b32 v15, v12
	;; [unrolled: 1-line block ×4, first 2 shown]
	s_waitcnt lgkmcnt(1)
	v_add_u32_e32 v14, v16, v14
	s_waitcnt lgkmcnt(0)
	v_add_u32_e32 v15, v17, v15
	ds_write_b32 v3, v14
	ds_write_b32 v4, v15
.LBB3_14:
	s_or_b64 exec, exec, s[10:11]
	v_and_b32_e32 v14, 63, v0
	v_cmp_eq_u32_e64 s[10:11], 63, v14
	s_waitcnt lgkmcnt(0)
	s_barrier
	s_and_saveexec_b64 s[12:13], s[10:11]
	s_cbranch_execz .LBB3_16
; %bb.15:
	v_add_u32_e32 v14, 0xffffff80, v3
	v_add_u32_e32 v15, 0xffffff80, v4
	ds_read_b32 v14, v14
	ds_read_b32 v15, v15
	;; [unrolled: 1-line block ×4, first 2 shown]
	s_waitcnt lgkmcnt(1)
	v_add_u32_e32 v14, v16, v14
	ds_write_b32 v3, v14
	s_waitcnt lgkmcnt(1)
	v_add_u32_e32 v14, v17, v15
	ds_write_b32 v4, v14
.LBB3_16:
	s_or_b64 exec, exec, s[12:13]
	s_movk_i32 s12, 0x7f
	v_and_b32_e32 v14, 0x7f, v0
	v_cmp_eq_u32_e64 s[12:13], s12, v14
	s_waitcnt lgkmcnt(0)
	s_barrier
	s_and_saveexec_b64 s[30:31], s[12:13]
	s_cbranch_execz .LBB3_18
; %bb.17:
	v_add_u32_e32 v14, 0xffffff00, v3
	v_add_u32_e32 v15, 0xffffff00, v4
	ds_read_b32 v14, v14
	ds_read_b32 v15, v15
	;; [unrolled: 1-line block ×4, first 2 shown]
	s_waitcnt lgkmcnt(1)
	v_add_u32_e32 v14, v16, v14
	ds_write_b32 v3, v14
	s_waitcnt lgkmcnt(1)
	v_add_u32_e32 v14, v17, v15
	ds_write_b32 v4, v14
.LBB3_18:
	s_or_b64 exec, exec, s[30:31]
	s_waitcnt lgkmcnt(0)
	s_barrier
	s_and_saveexec_b64 s[30:31], s[12:13]
	s_cbranch_execz .LBB3_20
; %bb.19:
	ds_read_b32 v14, v3
	ds_read_b32 v16, v4
	v_mov_b32_e32 v17, 0
	s_waitcnt lgkmcnt(1)
	v_mov_b32_e32 v15, v14
	s_waitcnt lgkmcnt(0)
	ds_write2_b32 v17, v16, v16 offset0:128 offset1:131
	ds_write_b64 v17, v[14:15] offset:1040
	ds_write_b32 v3, v17
	ds_write_b32 v4, v17
.LBB3_20:
	s_or_b64 exec, exec, s[30:31]
	s_and_saveexec_b64 s[30:31], s[12:13]
	s_cbranch_execz .LBB3_22
; %bb.21:
	v_add_u32_e32 v15, 0xffffff00, v4
	v_add_u32_e32 v14, 0xffffff00, v3
	ds_read_b32 v16, v15
	ds_read_b32 v17, v3
	;; [unrolled: 1-line block ×4, first 2 shown]
	s_waitcnt lgkmcnt(2)
	ds_write_b32 v14, v17
	s_waitcnt lgkmcnt(2)
	v_add_u32_e32 v14, v17, v18
	ds_write_b32 v3, v14
	s_waitcnt lgkmcnt(2)
	ds_write_b32 v15, v19
	v_add_u32_e32 v14, v19, v16
	ds_write_b32 v4, v14
.LBB3_22:
	s_or_b64 exec, exec, s[30:31]
	s_waitcnt lgkmcnt(0)
	s_barrier
	s_and_saveexec_b64 s[12:13], s[10:11]
	s_cbranch_execz .LBB3_24
; %bb.23:
	v_add_u32_e32 v15, 0xffffff80, v4
	v_add_u32_e32 v14, 0xffffff80, v3
	ds_read_b32 v16, v15
	ds_read_b32 v17, v3
	;; [unrolled: 1-line block ×4, first 2 shown]
	s_waitcnt lgkmcnt(2)
	ds_write_b32 v14, v17
	s_waitcnt lgkmcnt(2)
	v_add_u32_e32 v14, v17, v18
	ds_write_b32 v3, v14
	s_waitcnt lgkmcnt(2)
	ds_write_b32 v15, v19
	v_add_u32_e32 v14, v19, v16
	ds_write_b32 v4, v14
.LBB3_24:
	s_or_b64 exec, exec, s[12:13]
	s_waitcnt lgkmcnt(0)
	s_barrier
	s_and_saveexec_b64 s[10:11], s[8:9]
	s_cbranch_execz .LBB3_26
; %bb.25:
	ds_read_b32 v14, v12
	ds_read_b32 v15, v3
	ds_read_b32 v16, v13
	ds_read_b32 v17, v4
	s_waitcnt lgkmcnt(2)
	ds_write_b32 v13, v15
	s_waitcnt lgkmcnt(2)
	v_add_u32_e32 v13, v15, v16
	ds_write_b32 v3, v13
	s_waitcnt lgkmcnt(2)
	ds_write_b32 v12, v17
	v_add_u32_e32 v12, v17, v14
	ds_write_b32 v4, v12
.LBB3_26:
	s_or_b64 exec, exec, s[10:11]
	s_waitcnt lgkmcnt(0)
	s_barrier
	s_and_saveexec_b64 s[8:9], s[14:15]
	s_cbranch_execz .LBB3_28
; %bb.27:
	ds_read_b32 v12, v10
	ds_read_b32 v13, v3
	ds_read_b32 v14, v11
	ds_read_b32 v15, v4
	s_waitcnt lgkmcnt(2)
	ds_write_b32 v11, v13
	s_waitcnt lgkmcnt(2)
	v_add_u32_e32 v11, v13, v14
	ds_write_b32 v3, v11
	s_waitcnt lgkmcnt(2)
	ds_write_b32 v10, v15
	v_add_u32_e32 v10, v15, v12
	ds_write_b32 v4, v10
.LBB3_28:
	;; [unrolled: 20-line block ×4, first 2 shown]
	s_or_b64 exec, exec, s[4:5]
	s_waitcnt lgkmcnt(0)
	s_barrier
	s_and_saveexec_b64 s[2:3], s[0:1]
	s_cbranch_execz .LBB3_34
; %bb.33:
	ds_read2_b32 v[6:7], v2 offset1:1
	ds_read2_b32 v[8:9], v5 offset1:1
	s_waitcnt lgkmcnt(1)
	v_add_u32_e32 v6, v7, v6
	s_waitcnt lgkmcnt(0)
	v_add_u32_e32 v8, v9, v8
	ds_write2_b32 v2, v7, v6 offset1:1
	ds_write2_b32 v5, v9, v8 offset1:1
.LBB3_34:
	s_or_b64 exec, exec, s[2:3]
	v_cmp_eq_u32_e64 s[0:1], 0, v0
	s_waitcnt lgkmcnt(0)
	s_barrier
                                        ; implicit-def: $sgpr12_sgpr13
                                        ; implicit-def: $sgpr10_sgpr11
                                        ; implicit-def: $sgpr2_sgpr3
                                        ; implicit-def: $sgpr8_sgpr9
                                        ; implicit-def: $sgpr4_sgpr5
	s_and_saveexec_b64 s[14:15], s[0:1]
	s_cbranch_execz .LBB3_40
; %bb.35:
	v_mov_b32_e32 v2, 0
	ds_read_b32 v0, v2 offset:1044
	s_mov_b64 s[8:9], exec
	s_mul_hi_u32 s2, s34, 20
	s_mul_i32 s34, s34, 20
	v_mbcnt_lo_u32_b32 v5, s8, 0
	s_add_u32 s4, s22, s34
	v_mbcnt_hi_u32_b32 v5, s9, v5
	s_addc_u32 s5, s23, s2
	v_cmp_eq_u32_e64 s[2:3], 0, v5
                                        ; implicit-def: $vgpr6
	s_and_saveexec_b64 s[10:11], s[2:3]
	s_cbranch_execz .LBB3_37
; %bb.36:
	s_bcnt1_i32_b64 s2, s[8:9]
	s_waitcnt lgkmcnt(0)
	v_mul_lo_u32 v6, v0, s2
	global_atomic_add v6, v2, v6, s[4:5] glc
.LBB3_37:
	s_or_b64 exec, exec, s[10:11]
	s_waitcnt lgkmcnt(0)
	v_mul_lo_u32 v5, v0, v5
	ds_read_b32 v0, v2 offset:524
	s_waitcnt vmcnt(0)
	v_readfirstlane_b32 s2, v6
	s_mov_b64 s[10:11], exec
	v_add_u32_e32 v5, s2, v5
	ds_write_b32 v2, v5 offset:520
	v_mbcnt_lo_u32_b32 v5, s10, 0
	s_add_u32 s8, s4, 4
	v_mbcnt_hi_u32_b32 v5, s11, v5
	s_addc_u32 s9, s5, 0
	s_waitcnt lgkmcnt(1)
	v_sub_u32_e32 v2, 0, v0
	v_cmp_eq_u32_e64 s[2:3], 0, v5
                                        ; implicit-def: $vgpr6
	s_and_saveexec_b64 s[12:13], s[2:3]
	s_cbranch_execz .LBB3_39
; %bb.38:
	s_bcnt1_i32_b64 s2, s[10:11]
	v_mul_lo_u32 v6, v2, s2
	v_mov_b32_e32 v7, 0
	global_atomic_add v6, v7, v6, s[8:9] glc
.LBB3_39:
	s_or_b64 exec, exec, s[12:13]
	s_add_u32 s2, s4, 8
	v_mul_lo_u32 v2, v2, v5
	s_addc_u32 s3, s5, 0
	s_add_u32 s10, s4, 12
	s_addc_u32 s11, s5, 0
	s_waitcnt vmcnt(0)
	v_readfirstlane_b32 s22, v6
	s_add_u32 s12, s4, 16
	v_add_u32_e32 v2, s22, v2
	s_addc_u32 s13, s5, 0
	v_sub_u32_e32 v0, v2, v0
	v_mov_b32_e32 v2, 0
	ds_write_b32 v2, v0 offset:516
.LBB3_40:
	s_or_b64 exec, exec, s[14:15]
	s_and_b64 s[14:15], s[28:29], exec
	s_cselect_b32 s24, s19, s17
	s_cselect_b32 s28, s18, s16
	s_waitcnt lgkmcnt(0)
	s_barrier
	s_and_saveexec_b64 s[14:15], vcc
	s_cbranch_execz .LBB3_47
; %bb.41:
	v_mov_b32_e32 v2, 0
	ds_read_b32 v0, v4
	ds_read2_b32 v[4:5], v2 offset0:129 offset1:130
	ds_read_b32 v6, v3
	s_mov_b64 s[18:19], 0
	s_waitcnt lgkmcnt(1)
	v_add_u32_e32 v3, v0, v4
	s_waitcnt lgkmcnt(0)
	v_add_u32_e32 v5, v6, v5
	v_mov_b32_e32 v0, s33
	s_branch .LBB3_43
.LBB3_42:                               ;   in Loop: Header=BB3_43 Depth=1
	s_or_b64 exec, exec, s[22:23]
	v_add_u32_e32 v1, 0x80, v1
	v_cmp_le_u32_e32 vcc, s25, v1
	s_or_b64 s[18:19], vcc, s[18:19]
	s_andn2_b64 exec, exec, s[18:19]
	s_cbranch_execz .LBB3_47
.LBB3_43:                               ; =>This Inner Loop Header: Depth=1
	v_lshlrev_b64 v[6:7], 2, v[1:2]
	v_add_co_u32_e32 v6, vcc, s7, v6
	v_addc_co_u32_e32 v7, vcc, v0, v7, vcc
	global_load_dword v4, v[6:7], off
	s_waitcnt vmcnt(0)
	v_cvt_u32_f32_e32 v4, v4
	v_cvt_f32_u32_e32 v7, v4
	v_cmp_gt_f32_e32 vcc, s26, v7
	s_and_saveexec_b64 s[22:23], vcc
	s_cbranch_execz .LBB3_45
; %bb.44:                               ;   in Loop: Header=BB3_43 Depth=1
	v_mov_b32_e32 v6, v2
	v_lshlrev_b64 v[8:9], 2, v[5:6]
	v_mov_b32_e32 v4, s24
	v_add_co_u32_e32 v8, vcc, s28, v8
	v_addc_co_u32_e32 v9, vcc, v4, v9, vcc
	v_add_u32_e32 v5, 1, v5
	global_store_dword v[8:9], v7, off
.LBB3_45:                               ;   in Loop: Header=BB3_43 Depth=1
	s_or_b64 exec, exec, s[22:23]
	v_cmp_lt_f32_e32 vcc, s26, v7
	s_and_saveexec_b64 s[22:23], vcc
	s_cbranch_execz .LBB3_42
; %bb.46:                               ;   in Loop: Header=BB3_43 Depth=1
	v_mov_b32_e32 v4, v2
	v_lshlrev_b64 v[8:9], 2, v[3:4]
	v_mov_b32_e32 v4, s24
	v_add_co_u32_e32 v8, vcc, s28, v8
	v_addc_co_u32_e32 v9, vcc, v4, v9, vcc
	v_add_u32_e32 v3, 1, v3
	global_store_dword v[8:9], v7, off
	s_branch .LBB3_42
.LBB3_47:
	s_or_b64 exec, exec, s[14:15]
	s_waitcnt vmcnt(0)
	s_barrier
	s_and_saveexec_b64 s[14:15], s[0:1]
	s_cbranch_execz .LBB3_59
; %bb.48:
	s_mov_b64 s[14:15], exec
	v_mbcnt_lo_u32_b32 v0, s14, 0
	v_mbcnt_hi_u32_b32 v0, s15, v0
	v_cmp_eq_u32_e32 vcc, 0, v0
                                        ; implicit-def: $vgpr1
	s_and_saveexec_b64 s[0:1], vcc
	s_cbranch_execz .LBB3_50
; %bb.49:
	s_bcnt1_i32_b64 s7, s[14:15]
	s_sub_i32 s7, 0, s7
	v_mov_b32_e32 v1, 0
	v_mov_b32_e32 v2, s7
	global_atomic_add v1, v1, v2, s[12:13] glc
.LBB3_50:
	s_or_b64 exec, exec, s[0:1]
	s_waitcnt vmcnt(0)
	v_readfirstlane_b32 s0, v1
	v_sub_u32_e32 v0, s0, v0
	v_cmp_eq_u32_e32 vcc, 0, v0
	s_and_b64 exec, exec, vcc
	s_cbranch_execz .LBB3_59
; %bb.51:
	v_mov_b32_e32 v0, 0
	global_load_dword v1, v0, s[4:5]
	global_load_dword v2, v0, s[8:9]
	global_load_dword v3, v0, s[2:3]
	global_load_dword v4, v0, s[10:11]
	s_waitcnt vmcnt(3)
	v_readfirstlane_b32 s2, v1
	s_waitcnt vmcnt(2)
	v_cmp_ge_u32_e32 vcc, v1, v2
	v_readfirstlane_b32 s0, v2
	s_waitcnt vmcnt(1)
	v_readfirstlane_b32 s4, v3
	s_waitcnt vmcnt(0)
	v_readfirstlane_b32 s7, v4
	s_cbranch_vccnz .LBB3_54
; %bb.52:
	s_mov_b32 s3, 0
	s_lshl_b64 s[8:9], s[2:3], 2
	s_add_u32 s8, s16, s8
	s_addc_u32 s9, s17, s9
	v_mov_b32_e32 v1, s26
	s_mov_b32 s1, s2
.LBB3_53:                               ; =>This Inner Loop Header: Depth=1
	s_add_i32 s1, s1, 1
	global_store_dword v0, v1, s[8:9]
	s_add_u32 s8, s8, 4
	s_addc_u32 s9, s9, 0
	s_cmp_lt_u32 s1, s0
	s_cbranch_scc1 .LBB3_53
.LBB3_54:
	s_mov_b32 s5, 0
	s_lshl_b64 s[8:9], s[4:5], 2
	s_add_u32 s8, s28, s8
	s_addc_u32 s9, s24, s9
	global_load_dword v2, v0, s[8:9]
	s_add_i32 s8, s7, -1
	s_mov_b32 s9, s5
	s_lshl_b64 s[8:9], s[8:9], 2
	s_add_u32 s8, s28, s8
	s_addc_u32 s9, s24, s9
	global_load_dword v1, v0, s[8:9]
	s_cmp_ge_u32 s4, s2
	s_waitcnt vmcnt(1)
	v_cvt_u32_f32_e32 v0, v2
	s_cbranch_scc1 .LBB3_56
; %bb.55:
	s_add_i32 s1, s4, s2
	s_lshr_b32 s8, s1, 1
	s_mov_b32 s9, s5
	s_lshl_b64 s[8:9], s[8:9], 2
	s_add_u32 s8, s28, s8
	s_addc_u32 s9, s24, s9
	v_mov_b32_e32 v2, 0
	global_load_dword v3, v2, s[8:9]
	s_add_i32 s8, s2, -1
	s_mov_b32 s9, s5
	s_lshl_b64 s[8:9], s[8:9], 2
	s_add_u32 s8, s28, s8
	s_addc_u32 s9, s24, s9
	global_load_dword v2, v2, s[8:9]
	s_waitcnt vmcnt(1)
	v_cvt_u32_f32_e32 v3, v3
	v_max_u32_e32 v4, v0, v3
	v_min_u32_e32 v0, v0, v3
	s_waitcnt vmcnt(0)
	v_cvt_u32_f32_e32 v2, v2
	v_max_u32_e32 v0, v0, v2
	v_cmp_lt_u32_e32 vcc, v4, v2
	v_cndmask_b32_e32 v0, v0, v4, vcc
.LBB3_56:
	s_waitcnt vmcnt(0)
	v_cvt_u32_f32_e32 v1, v1
	s_cmp_ge_u32 s0, s7
	s_cbranch_scc1 .LBB3_58
; %bb.57:
	s_mov_b32 s1, 0
	s_lshl_b64 s[8:9], s[0:1], 2
	s_add_u32 s8, s28, s8
	s_addc_u32 s9, s24, s9
	s_add_i32 s3, s7, s0
	s_lshr_b32 s10, s3, 1
	s_mov_b32 s11, s1
	s_lshl_b64 s[10:11], s[10:11], 2
	v_mov_b32_e32 v2, 0
	s_add_u32 s10, s28, s10
	s_addc_u32 s11, s24, s11
	global_load_dword v3, v2, s[8:9]
	global_load_dword v4, v2, s[10:11]
	s_waitcnt vmcnt(1)
	v_cvt_u32_f32_e32 v2, v3
	s_waitcnt vmcnt(0)
	v_cvt_u32_f32_e32 v3, v4
	v_max_u32_e32 v4, v2, v3
	v_min_u32_e32 v2, v2, v3
	v_max_u32_e32 v2, v2, v1
	v_cmp_lt_u32_e32 vcc, v4, v1
	v_cndmask_b32_e32 v1, v2, v4, vcc
.LBB3_58:
	s_lshl_b32 s8, s6, 1
	s_mov_b32 s9, 0
	s_lshl_b64 s[8:9], s[8:9], 4
	v_cvt_f32_u32_e32 v4, v0
	s_add_u32 s8, s20, s8
	s_addc_u32 s9, s21, s9
	s_xor_b32 s1, s27, 1
	v_mov_b32_e32 v6, 0
	v_mov_b32_e32 v2, s4
	;; [unrolled: 1-line block ×4, first 2 shown]
	global_store_dwordx4 v6, v[2:5], s[8:9]
	s_nop 0
	v_cvt_f32_u32_e32 v4, v1
	v_mov_b32_e32 v2, s0
	v_mov_b32_e32 v3, s7
	global_store_dwordx4 v6, v[2:5], s[8:9] offset:16
.LBB3_59:
	s_endpgm
	.section	.rodata,"a",@progbits
	.p2align	6, 0x0
	.amdhsa_kernel _Z13gqsort_kernelIfEvPT_S1_P12block_recordIS0_EP13parent_recordP11work_recordIS0_E
		.amdhsa_group_segment_fixed_size 1048
		.amdhsa_private_segment_fixed_size 0
		.amdhsa_kernarg_size 40
		.amdhsa_user_sgpr_count 6
		.amdhsa_user_sgpr_private_segment_buffer 1
		.amdhsa_user_sgpr_dispatch_ptr 0
		.amdhsa_user_sgpr_queue_ptr 0
		.amdhsa_user_sgpr_kernarg_segment_ptr 1
		.amdhsa_user_sgpr_dispatch_id 0
		.amdhsa_user_sgpr_flat_scratch_init 0
		.amdhsa_user_sgpr_private_segment_size 0
		.amdhsa_uses_dynamic_stack 0
		.amdhsa_system_sgpr_private_segment_wavefront_offset 0
		.amdhsa_system_sgpr_workgroup_id_x 1
		.amdhsa_system_sgpr_workgroup_id_y 0
		.amdhsa_system_sgpr_workgroup_id_z 0
		.amdhsa_system_sgpr_workgroup_info 0
		.amdhsa_system_vgpr_workitem_id 0
		.amdhsa_next_free_vgpr 20
		.amdhsa_next_free_sgpr 35
		.amdhsa_reserve_vcc 1
		.amdhsa_reserve_flat_scratch 0
		.amdhsa_float_round_mode_32 0
		.amdhsa_float_round_mode_16_64 0
		.amdhsa_float_denorm_mode_32 3
		.amdhsa_float_denorm_mode_16_64 3
		.amdhsa_dx10_clamp 1
		.amdhsa_ieee_mode 1
		.amdhsa_fp16_overflow 0
		.amdhsa_exception_fp_ieee_invalid_op 0
		.amdhsa_exception_fp_denorm_src 0
		.amdhsa_exception_fp_ieee_div_zero 0
		.amdhsa_exception_fp_ieee_overflow 0
		.amdhsa_exception_fp_ieee_underflow 0
		.amdhsa_exception_fp_ieee_inexact 0
		.amdhsa_exception_int_div_zero 0
	.end_amdhsa_kernel
	.section	.text._Z13gqsort_kernelIfEvPT_S1_P12block_recordIS0_EP13parent_recordP11work_recordIS0_E,"axG",@progbits,_Z13gqsort_kernelIfEvPT_S1_P12block_recordIS0_EP13parent_recordP11work_recordIS0_E,comdat
.Lfunc_end3:
	.size	_Z13gqsort_kernelIfEvPT_S1_P12block_recordIS0_EP13parent_recordP11work_recordIS0_E, .Lfunc_end3-_Z13gqsort_kernelIfEvPT_S1_P12block_recordIS0_EP13parent_recordP11work_recordIS0_E
                                        ; -- End function
	.set _Z13gqsort_kernelIfEvPT_S1_P12block_recordIS0_EP13parent_recordP11work_recordIS0_E.num_vgpr, 20
	.set _Z13gqsort_kernelIfEvPT_S1_P12block_recordIS0_EP13parent_recordP11work_recordIS0_E.num_agpr, 0
	.set _Z13gqsort_kernelIfEvPT_S1_P12block_recordIS0_EP13parent_recordP11work_recordIS0_E.numbered_sgpr, 35
	.set _Z13gqsort_kernelIfEvPT_S1_P12block_recordIS0_EP13parent_recordP11work_recordIS0_E.num_named_barrier, 0
	.set _Z13gqsort_kernelIfEvPT_S1_P12block_recordIS0_EP13parent_recordP11work_recordIS0_E.private_seg_size, 0
	.set _Z13gqsort_kernelIfEvPT_S1_P12block_recordIS0_EP13parent_recordP11work_recordIS0_E.uses_vcc, 1
	.set _Z13gqsort_kernelIfEvPT_S1_P12block_recordIS0_EP13parent_recordP11work_recordIS0_E.uses_flat_scratch, 0
	.set _Z13gqsort_kernelIfEvPT_S1_P12block_recordIS0_EP13parent_recordP11work_recordIS0_E.has_dyn_sized_stack, 0
	.set _Z13gqsort_kernelIfEvPT_S1_P12block_recordIS0_EP13parent_recordP11work_recordIS0_E.has_recursion, 0
	.set _Z13gqsort_kernelIfEvPT_S1_P12block_recordIS0_EP13parent_recordP11work_recordIS0_E.has_indirect_call, 0
	.section	.AMDGPU.csdata,"",@progbits
; Kernel info:
; codeLenInByte = 2956
; TotalNumSgprs: 39
; NumVgprs: 20
; ScratchSize: 0
; MemoryBound: 0
; FloatMode: 240
; IeeeMode: 1
; LDSByteSize: 1048 bytes/workgroup (compile time only)
; SGPRBlocks: 4
; VGPRBlocks: 4
; NumSGPRsForWavesPerEU: 39
; NumVGPRsForWavesPerEU: 20
; Occupancy: 10
; WaveLimiterHint : 1
; COMPUTE_PGM_RSRC2:SCRATCH_EN: 0
; COMPUTE_PGM_RSRC2:USER_SGPR: 6
; COMPUTE_PGM_RSRC2:TRAP_HANDLER: 0
; COMPUTE_PGM_RSRC2:TGID_X_EN: 1
; COMPUTE_PGM_RSRC2:TGID_Y_EN: 0
; COMPUTE_PGM_RSRC2:TGID_Z_EN: 0
; COMPUTE_PGM_RSRC2:TIDIG_COMP_CNT: 0
	.text
	.p2align	2                               ; -- Begin function _Z14sort_thresholdIfEvPT_S1_jjS1_j
	.type	_Z14sort_thresholdIfEvPT_S1_jjS1_j,@function
_Z14sort_thresholdIfEvPT_S1_jjS1_j:     ; @_Z14sort_thresholdIfEvPT_S1_jjS1_j
; %bb.0:
	s_waitcnt vmcnt(0) expcnt(0) lgkmcnt(0)
	v_sub_u32_e32 v5, v5, v4
	s_movk_i32 s4, 0x100
	v_cmp_ne_u32_e32 vcc, s4, v5
	s_and_saveexec_b64 s[4:5], vcc
	s_xor_b64 s[6:7], exec, s[4:5]
	s_cbranch_execnz .LBB4_3
; %bb.1:
	s_andn2_saveexec_b64 s[6:7], s[6:7]
	s_cbranch_execnz .LBB4_18
.LBB4_2:
	s_or_b64 exec, exec, s[6:7]
	s_waitcnt vmcnt(0) lgkmcnt(0)
	s_setpc_b64 s[30:31]
.LBB4_3:
	v_cmp_gt_u32_e32 vcc, 2, v5
	s_and_saveexec_b64 s[4:5], vcc
	s_xor_b64 s[8:9], exec, s[4:5]
	s_cbranch_execz .LBB4_7
; %bb.4:
	v_cmp_eq_u32_e32 vcc, 1, v5
	v_cmp_eq_u32_e64 s[4:5], 0, v6
	s_and_b64 s[10:11], vcc, s[4:5]
	s_and_saveexec_b64 s[4:5], s[10:11]
	s_cbranch_execz .LBB4_6
; %bb.5:
	v_mov_b32_e32 v5, 0
	v_lshlrev_b64 v[4:5], 2, v[4:5]
	v_add_co_u32_e32 v0, vcc, v0, v4
	v_addc_co_u32_e32 v1, vcc, v1, v5, vcc
	flat_load_dword v6, v[0:1]
	v_add_co_u32_e32 v0, vcc, v2, v4
	v_addc_co_u32_e32 v1, vcc, v3, v5, vcc
	s_waitcnt vmcnt(0) lgkmcnt(0)
	flat_store_dword v[0:1], v6
.LBB4_6:
	s_or_b64 exec, exec, s[4:5]
                                        ; implicit-def: $vgpr6
                                        ; implicit-def: $vgpr5
                                        ; implicit-def: $vgpr4
                                        ; implicit-def: $vgpr2
                                        ; implicit-def: $vgpr3
                                        ; implicit-def: $vgpr0
                                        ; implicit-def: $vgpr1
.LBB4_7:
	s_andn2_saveexec_b64 s[4:5], s[8:9]
	s_cbranch_execz .LBB4_17
; %bb.8:
	s_movk_i32 s8, 0x100
	v_cmp_gt_u32_e32 vcc, s8, v6
	s_and_saveexec_b64 s[8:9], vcc
	s_cbranch_execz .LBB4_13
; %bb.9:
	v_mov_b32_e32 v7, 0x3600
	v_lshl_add_u32 v9, v6, 2, v7
	s_mov_b64 s[10:11], 0
	v_mov_b32_e32 v8, 0
	s_movk_i32 s14, 0x7f
	v_mov_b32_e32 v10, v6
	s_branch .LBB4_11
.LBB4_10:                               ;   in Loop: Header=BB4_11 Depth=1
	s_or_b64 exec, exec, s[12:13]
	s_waitcnt vmcnt(0) lgkmcnt(0)
	ds_write_b32 v9, v7
	v_add_u32_e32 v7, 0x80, v10
	v_cmp_lt_u32_e32 vcc, s14, v10
	v_add_u32_e32 v9, 0x200, v9
	s_or_b64 s[10:11], vcc, s[10:11]
	v_mov_b32_e32 v10, v7
	s_andn2_b64 exec, exec, s[10:11]
	s_cbranch_execz .LBB4_13
.LBB4_11:                               ; =>This Inner Loop Header: Depth=1
	v_cmp_lt_u32_e32 vcc, v10, v5
	v_mov_b32_e32 v7, 0x4f800000
	s_and_saveexec_b64 s[12:13], vcc
	s_cbranch_execz .LBB4_10
; %bb.12:                               ;   in Loop: Header=BB4_11 Depth=1
	v_add_u32_e32 v7, v4, v10
	v_lshlrev_b64 v[11:12], 2, v[7:8]
	v_add_co_u32_e32 v11, vcc, v0, v11
	v_addc_co_u32_e32 v12, vcc, v1, v12, vcc
	flat_load_dword v7, v[11:12]
	s_branch .LBB4_10
.LBB4_13:
	s_or_b64 exec, exec, s[8:9]
	v_lshlrev_b32_e32 v0, 3, v6
	s_waitcnt vmcnt(0) lgkmcnt(0)
	s_barrier
	ds_read_b64 v[7:8], v0 offset:13824
	v_and_b32_e32 v11, 1, v6
	v_cmp_eq_u32_e32 vcc, 0, v11
	s_waitcnt lgkmcnt(0)
	v_cvt_u32_f32_e32 v1, v7
	v_cvt_u32_f32_e32 v7, v8
	v_max_u32_e32 v8, v1, v7
	v_min_u32_e32 v1, v1, v7
	v_cndmask_b32_e32 v7, v8, v1, vcc
	v_cndmask_b32_e32 v1, v1, v8, vcc
	v_cvt_f32_u32_e32 v9, v7
	v_cvt_f32_u32_e32 v10, v1
	v_lshlrev_b32_e32 v8, 1, v6
	v_sub_u32_e32 v1, v8, v11
	v_lshlrev_b32_e32 v1, 2, v1
	v_add_u32_e32 v1, 0x3400, v1
	ds_write_b64 v0, v[9:10] offset:13824
	s_waitcnt lgkmcnt(0)
	s_barrier
	ds_read2_b32 v[9:10], v1 offset0:128 offset1:130
	s_waitcnt lgkmcnt(0)
	v_cvt_u32_f32_e32 v7, v9
	v_cvt_u32_f32_e32 v9, v10
	v_and_b32_e32 v10, 2, v6
	v_cmp_eq_u32_e32 vcc, 0, v10
	v_max_u32_e32 v11, v7, v9
	v_min_u32_e32 v7, v7, v9
	v_cndmask_b32_e32 v9, v11, v7, vcc
	v_cndmask_b32_e32 v7, v7, v11, vcc
	v_cvt_f32_u32_e32 v9, v9
	v_cvt_f32_u32_e32 v7, v7
	v_and_b32_e32 v11, 4, v6
	ds_write2_b32 v1, v9, v7 offset0:128 offset1:130
	s_waitcnt lgkmcnt(0)
	s_barrier
	ds_read_b64 v[9:10], v0 offset:13824
	s_waitcnt lgkmcnt(0)
	v_cvt_u32_f32_e32 v7, v9
	v_cvt_u32_f32_e32 v9, v10
	v_max_u32_e32 v10, v7, v9
	v_min_u32_e32 v7, v7, v9
	v_cndmask_b32_e32 v9, v10, v7, vcc
	v_cndmask_b32_e32 v7, v7, v10, vcc
	v_cvt_f32_u32_e32 v9, v9
	v_cvt_f32_u32_e32 v10, v7
	v_and_b32_e32 v7, 3, v6
	v_sub_u32_e32 v7, v8, v7
	v_lshlrev_b32_e32 v7, 2, v7
	v_add_u32_e32 v7, 0x3400, v7
	ds_write_b64 v0, v[9:10] offset:13824
	s_waitcnt lgkmcnt(0)
	s_barrier
	ds_read2_b32 v[9:10], v7 offset0:128 offset1:132
	v_cmp_eq_u32_e32 vcc, 0, v11
	s_waitcnt lgkmcnt(0)
	v_cvt_u32_f32_e32 v9, v9
	v_cvt_u32_f32_e32 v10, v10
	v_max_u32_e32 v12, v9, v10
	v_min_u32_e32 v9, v9, v10
	v_cndmask_b32_e32 v10, v12, v9, vcc
	v_cndmask_b32_e32 v9, v9, v12, vcc
	v_cvt_f32_u32_e32 v10, v10
	v_cvt_f32_u32_e32 v9, v9
	v_and_b32_e32 v12, 8, v6
	ds_write2_b32 v7, v10, v9 offset0:128 offset1:132
	s_waitcnt lgkmcnt(0)
	s_barrier
	ds_read2_b32 v[9:10], v1 offset0:128 offset1:130
	s_waitcnt lgkmcnt(0)
	v_cvt_u32_f32_e32 v9, v9
	v_cvt_u32_f32_e32 v10, v10
	v_max_u32_e32 v11, v9, v10
	v_min_u32_e32 v9, v9, v10
	v_cndmask_b32_e32 v10, v11, v9, vcc
	v_cndmask_b32_e32 v9, v9, v11, vcc
	v_cvt_f32_u32_e32 v10, v10
	v_cvt_f32_u32_e32 v9, v9
	ds_write2_b32 v1, v10, v9 offset0:128 offset1:130
	s_waitcnt lgkmcnt(0)
	s_barrier
	ds_read_b64 v[9:10], v0 offset:13824
	s_waitcnt lgkmcnt(0)
	v_cvt_u32_f32_e32 v9, v9
	v_cvt_u32_f32_e32 v10, v10
	v_max_u32_e32 v11, v9, v10
	v_min_u32_e32 v10, v9, v10
	v_cndmask_b32_e32 v9, v11, v10, vcc
	v_cndmask_b32_e32 v10, v10, v11, vcc
	v_cvt_f32_u32_e32 v9, v9
	v_cvt_f32_u32_e32 v10, v10
	v_cmp_eq_u32_e32 vcc, 0, v12
	ds_write_b64 v0, v[9:10] offset:13824
	v_and_b32_e32 v9, 7, v6
	v_sub_u32_e32 v9, v8, v9
	v_lshlrev_b32_e32 v9, 2, v9
	v_add_u32_e32 v9, 0x3400, v9
	s_waitcnt lgkmcnt(0)
	s_barrier
	ds_read2_b32 v[10:11], v9 offset0:128 offset1:136
	s_waitcnt lgkmcnt(0)
	v_cvt_u32_f32_e32 v10, v10
	v_cvt_u32_f32_e32 v11, v11
	v_max_u32_e32 v13, v10, v11
	v_min_u32_e32 v10, v10, v11
	v_cndmask_b32_e32 v11, v13, v10, vcc
	v_cndmask_b32_e32 v10, v10, v13, vcc
	v_cvt_f32_u32_e32 v11, v11
	v_cvt_f32_u32_e32 v10, v10
	v_and_b32_e32 v13, 16, v6
	ds_write2_b32 v9, v11, v10 offset0:128 offset1:136
	s_waitcnt lgkmcnt(0)
	s_barrier
	ds_read2_b32 v[10:11], v7 offset0:128 offset1:132
	s_waitcnt lgkmcnt(0)
	v_cvt_u32_f32_e32 v10, v10
	v_cvt_u32_f32_e32 v11, v11
	v_max_u32_e32 v12, v10, v11
	v_min_u32_e32 v10, v10, v11
	v_cndmask_b32_e32 v11, v12, v10, vcc
	v_cndmask_b32_e32 v10, v10, v12, vcc
	v_cvt_f32_u32_e32 v11, v11
	v_cvt_f32_u32_e32 v10, v10
	ds_write2_b32 v7, v11, v10 offset0:128 offset1:132
	s_waitcnt lgkmcnt(0)
	s_barrier
	ds_read2_b32 v[10:11], v1 offset0:128 offset1:130
	s_waitcnt lgkmcnt(0)
	v_cvt_u32_f32_e32 v10, v10
	v_cvt_u32_f32_e32 v11, v11
	v_max_u32_e32 v12, v10, v11
	v_min_u32_e32 v10, v10, v11
	v_cndmask_b32_e32 v11, v12, v10, vcc
	v_cndmask_b32_e32 v10, v10, v12, vcc
	v_cvt_f32_u32_e32 v11, v11
	v_cvt_f32_u32_e32 v10, v10
	ds_write2_b32 v1, v11, v10 offset0:128 offset1:130
	s_waitcnt lgkmcnt(0)
	s_barrier
	ds_read_b64 v[10:11], v0 offset:13824
	s_waitcnt lgkmcnt(0)
	v_cvt_u32_f32_e32 v10, v10
	v_cvt_u32_f32_e32 v11, v11
	v_max_u32_e32 v12, v10, v11
	v_min_u32_e32 v11, v10, v11
	v_cndmask_b32_e32 v10, v12, v11, vcc
	v_cndmask_b32_e32 v11, v11, v12, vcc
	v_cvt_f32_u32_e32 v10, v10
	v_cvt_f32_u32_e32 v11, v11
	v_cmp_eq_u32_e32 vcc, 0, v13
	ds_write_b64 v0, v[10:11] offset:13824
	v_and_b32_e32 v10, 15, v6
	v_sub_u32_e32 v10, v8, v10
	v_lshlrev_b32_e32 v10, 2, v10
	v_add_u32_e32 v10, 0x3400, v10
	s_waitcnt lgkmcnt(0)
	s_barrier
	ds_read2_b32 v[11:12], v10 offset0:128 offset1:144
	s_waitcnt lgkmcnt(0)
	v_cvt_u32_f32_e32 v11, v11
	v_cvt_u32_f32_e32 v12, v12
	v_max_u32_e32 v14, v11, v12
	v_min_u32_e32 v11, v11, v12
	v_cndmask_b32_e32 v12, v14, v11, vcc
	v_cndmask_b32_e32 v11, v11, v14, vcc
	v_cvt_f32_u32_e32 v12, v12
	v_cvt_f32_u32_e32 v11, v11
	v_and_b32_e32 v14, 32, v6
	ds_write2_b32 v10, v12, v11 offset0:128 offset1:144
	s_waitcnt lgkmcnt(0)
	s_barrier
	ds_read2_b32 v[11:12], v9 offset0:128 offset1:136
	s_waitcnt lgkmcnt(0)
	v_cvt_u32_f32_e32 v11, v11
	v_cvt_u32_f32_e32 v12, v12
	v_max_u32_e32 v13, v11, v12
	v_min_u32_e32 v11, v11, v12
	v_cndmask_b32_e32 v12, v13, v11, vcc
	v_cndmask_b32_e32 v11, v11, v13, vcc
	v_cvt_f32_u32_e32 v12, v12
	v_cvt_f32_u32_e32 v11, v11
	ds_write2_b32 v9, v12, v11 offset0:128 offset1:136
	s_waitcnt lgkmcnt(0)
	s_barrier
	ds_read2_b32 v[11:12], v7 offset0:128 offset1:132
	s_waitcnt lgkmcnt(0)
	v_cvt_u32_f32_e32 v11, v11
	v_cvt_u32_f32_e32 v12, v12
	v_max_u32_e32 v13, v11, v12
	v_min_u32_e32 v11, v11, v12
	v_cndmask_b32_e32 v12, v13, v11, vcc
	v_cndmask_b32_e32 v11, v11, v13, vcc
	v_cvt_f32_u32_e32 v12, v12
	v_cvt_f32_u32_e32 v11, v11
	;; [unrolled: 13-line block ×3, first 2 shown]
	ds_write2_b32 v1, v12, v11 offset0:128 offset1:130
	s_waitcnt lgkmcnt(0)
	s_barrier
	ds_read_b64 v[11:12], v0 offset:13824
	s_waitcnt lgkmcnt(0)
	v_cvt_u32_f32_e32 v11, v11
	v_cvt_u32_f32_e32 v12, v12
	v_max_u32_e32 v13, v11, v12
	v_min_u32_e32 v11, v11, v12
	v_cndmask_b32_e32 v12, v13, v11, vcc
	v_cndmask_b32_e32 v13, v11, v13, vcc
	v_cvt_f32_u32_e32 v11, v12
	v_cvt_f32_u32_e32 v12, v13
	v_and_b32_e32 v13, 31, v6
	v_sub_u32_e32 v13, v8, v13
	v_cmp_eq_u32_e32 vcc, 0, v14
	ds_write_b64 v0, v[11:12] offset:13824
	v_lshlrev_b32_e32 v11, 2, v13
	v_add_u32_e32 v11, 0x3400, v11
	s_waitcnt lgkmcnt(0)
	s_barrier
	ds_read2_b32 v[12:13], v11 offset0:128 offset1:160
	s_waitcnt lgkmcnt(0)
	v_cvt_u32_f32_e32 v12, v12
	v_cvt_u32_f32_e32 v13, v13
	v_max_u32_e32 v15, v12, v13
	v_min_u32_e32 v12, v12, v13
	v_cndmask_b32_e32 v13, v15, v12, vcc
	v_cndmask_b32_e32 v12, v12, v15, vcc
	v_cvt_f32_u32_e32 v13, v13
	v_cvt_f32_u32_e32 v12, v12
	v_and_b32_e32 v15, 64, v6
	ds_write2_b32 v11, v13, v12 offset0:128 offset1:160
	s_waitcnt lgkmcnt(0)
	s_barrier
	ds_read2_b32 v[12:13], v10 offset0:128 offset1:144
	s_waitcnt lgkmcnt(0)
	v_cvt_u32_f32_e32 v12, v12
	v_cvt_u32_f32_e32 v13, v13
	v_max_u32_e32 v14, v12, v13
	v_min_u32_e32 v12, v12, v13
	v_cndmask_b32_e32 v13, v14, v12, vcc
	v_cndmask_b32_e32 v12, v12, v14, vcc
	v_cvt_f32_u32_e32 v13, v13
	v_cvt_f32_u32_e32 v12, v12
	ds_write2_b32 v10, v13, v12 offset0:128 offset1:144
	s_waitcnt lgkmcnt(0)
	s_barrier
	ds_read2_b32 v[12:13], v9 offset0:128 offset1:136
	s_waitcnt lgkmcnt(0)
	v_cvt_u32_f32_e32 v12, v12
	v_cvt_u32_f32_e32 v13, v13
	v_max_u32_e32 v14, v12, v13
	v_min_u32_e32 v12, v12, v13
	v_cndmask_b32_e32 v13, v14, v12, vcc
	v_cndmask_b32_e32 v12, v12, v14, vcc
	v_cvt_f32_u32_e32 v13, v13
	v_cvt_f32_u32_e32 v12, v12
	;; [unrolled: 13-line block ×4, first 2 shown]
	ds_write2_b32 v1, v13, v12 offset0:128 offset1:130
	s_waitcnt lgkmcnt(0)
	s_barrier
	ds_read_b64 v[12:13], v0 offset:13824
	s_waitcnt lgkmcnt(0)
	v_cvt_u32_f32_e32 v12, v12
	v_cvt_u32_f32_e32 v13, v13
	v_max_u32_e32 v14, v12, v13
	v_min_u32_e32 v12, v12, v13
	v_cndmask_b32_e32 v13, v14, v12, vcc
	v_cndmask_b32_e32 v12, v12, v14, vcc
	v_cvt_f32_u32_e32 v13, v13
	v_cvt_f32_u32_e32 v14, v12
	v_and_b32_e32 v12, 63, v6
	v_sub_u32_e32 v12, v8, v12
	v_lshlrev_b32_e32 v12, 2, v12
	ds_write_b64 v0, v[13:14] offset:13824
	s_waitcnt lgkmcnt(0)
	s_barrier
	ds_read2st64_b32 v[13:14], v12 offset0:54 offset1:55
	v_cmp_eq_u32_e32 vcc, 0, v15
	s_waitcnt lgkmcnt(0)
	v_cvt_u32_f32_e32 v13, v13
	v_cvt_u32_f32_e32 v14, v14
	v_max_u32_e32 v16, v13, v14
	v_min_u32_e32 v13, v13, v14
	v_cndmask_b32_e32 v14, v16, v13, vcc
	v_cndmask_b32_e32 v13, v13, v16, vcc
	v_cvt_f32_u32_e32 v14, v14
	v_cvt_f32_u32_e32 v13, v13
	ds_write2st64_b32 v12, v14, v13 offset0:54 offset1:55
	s_waitcnt lgkmcnt(0)
	s_barrier
	ds_read2_b32 v[13:14], v11 offset0:128 offset1:160
	s_waitcnt lgkmcnt(0)
	v_cvt_u32_f32_e32 v13, v13
	v_cvt_u32_f32_e32 v14, v14
	v_max_u32_e32 v15, v13, v14
	v_min_u32_e32 v13, v13, v14
	v_cndmask_b32_e32 v14, v15, v13, vcc
	v_cndmask_b32_e32 v13, v13, v15, vcc
	v_cvt_f32_u32_e32 v14, v14
	v_cvt_f32_u32_e32 v13, v13
	ds_write2_b32 v11, v14, v13 offset0:128 offset1:160
	s_waitcnt lgkmcnt(0)
	s_barrier
	ds_read2_b32 v[13:14], v10 offset0:128 offset1:144
	s_waitcnt lgkmcnt(0)
	v_cvt_u32_f32_e32 v13, v13
	v_cvt_u32_f32_e32 v14, v14
	v_max_u32_e32 v15, v13, v14
	v_min_u32_e32 v13, v13, v14
	v_cndmask_b32_e32 v14, v15, v13, vcc
	v_cndmask_b32_e32 v13, v13, v15, vcc
	v_cvt_f32_u32_e32 v14, v14
	v_cvt_f32_u32_e32 v13, v13
	ds_write2_b32 v10, v14, v13 offset0:128 offset1:144
	;; [unrolled: 13-line block ×5, first 2 shown]
	s_waitcnt lgkmcnt(0)
	s_barrier
	ds_read_b64 v[13:14], v0 offset:13824
	s_waitcnt lgkmcnt(0)
	v_cvt_u32_f32_e32 v13, v13
	v_cvt_u32_f32_e32 v14, v14
	v_max_u32_e32 v15, v13, v14
	v_min_u32_e32 v13, v13, v14
	v_cndmask_b32_e32 v14, v15, v13, vcc
	v_cndmask_b32_e32 v15, v13, v15, vcc
	v_cvt_f32_u32_e32 v13, v14
	v_cvt_f32_u32_e32 v14, v15
	v_and_b32_e32 v15, 0x7f, v6
	v_sub_u32_e32 v8, v8, v15
	v_lshlrev_b32_e32 v8, 2, v8
	ds_write_b64 v0, v[13:14] offset:13824
	s_waitcnt lgkmcnt(0)
	s_barrier
	ds_read2st64_b32 v[13:14], v8 offset0:54 offset1:56
	v_cmp_lt_u32_e32 vcc, v6, v5
	s_waitcnt lgkmcnt(0)
	v_cvt_u32_f32_e32 v13, v13
	v_cvt_u32_f32_e32 v14, v14
	v_min_u32_e32 v15, v13, v14
	v_max_u32_e32 v13, v13, v14
	v_cvt_f32_u32_e32 v14, v15
	v_cvt_f32_u32_e32 v13, v13
	ds_write2st64_b32 v8, v14, v13 offset0:54 offset1:56
	s_waitcnt lgkmcnt(0)
	s_barrier
	ds_read2st64_b32 v[13:14], v12 offset0:54 offset1:55
	s_waitcnt lgkmcnt(0)
	v_cvt_u32_f32_e32 v8, v13
	v_cvt_u32_f32_e32 v13, v14
	v_min_u32_e32 v14, v8, v13
	v_max_u32_e32 v8, v8, v13
	v_cvt_f32_u32_e32 v13, v14
	v_cvt_f32_u32_e32 v8, v8
	ds_write2st64_b32 v12, v13, v8 offset0:54 offset1:55
	s_waitcnt lgkmcnt(0)
	s_barrier
	ds_read2_b32 v[12:13], v11 offset0:128 offset1:160
	s_waitcnt lgkmcnt(0)
	v_cvt_u32_f32_e32 v8, v12
	v_cvt_u32_f32_e32 v12, v13
	v_min_u32_e32 v13, v8, v12
	v_max_u32_e32 v8, v8, v12
	v_cvt_f32_u32_e32 v12, v13
	v_cvt_f32_u32_e32 v8, v8
	ds_write2_b32 v11, v12, v8 offset0:128 offset1:160
	s_waitcnt lgkmcnt(0)
	s_barrier
	ds_read2_b32 v[11:12], v10 offset0:128 offset1:144
	s_waitcnt lgkmcnt(0)
	v_cvt_u32_f32_e32 v8, v11
	v_cvt_u32_f32_e32 v11, v12
	v_min_u32_e32 v12, v8, v11
	v_max_u32_e32 v8, v8, v11
	v_cvt_f32_u32_e32 v11, v12
	v_cvt_f32_u32_e32 v8, v8
	ds_write2_b32 v10, v11, v8 offset0:128 offset1:144
	;; [unrolled: 11-line block ×5, first 2 shown]
	s_waitcnt lgkmcnt(0)
	s_barrier
	ds_read_b64 v[7:8], v0 offset:13824
	s_waitcnt lgkmcnt(0)
	v_cvt_u32_f32_e32 v1, v7
	v_cvt_u32_f32_e32 v7, v8
	v_min_u32_e32 v8, v1, v7
	v_max_u32_e32 v1, v1, v7
	v_cvt_f32_u32_e32 v7, v8
	v_cvt_f32_u32_e32 v8, v1
	ds_write_b64 v0, v[7:8] offset:13824
	s_waitcnt lgkmcnt(0)
	s_barrier
	s_and_saveexec_b64 s[8:9], vcc
	s_cbranch_execz .LBB4_16
; %bb.14:
	v_mov_b32_e32 v0, 0x3600
	v_lshl_add_u32 v7, v6, 2, v0
	s_mov_b64 s[10:11], 0
	v_mov_b32_e32 v1, 0
.LBB4_15:                               ; =>This Inner Loop Header: Depth=1
	ds_read_b32 v10, v7
	v_add_u32_e32 v0, v4, v6
	v_add_u32_e32 v6, 0x80, v6
	v_lshlrev_b64 v[8:9], 2, v[0:1]
	v_cmp_ge_u32_e32 vcc, v6, v5
	s_or_b64 s[10:11], vcc, s[10:11]
	v_add_co_u32_e32 v8, vcc, v2, v8
	v_add_u32_e32 v7, 0x200, v7
	v_addc_co_u32_e32 v9, vcc, v3, v9, vcc
	s_waitcnt lgkmcnt(0)
	flat_store_dword v[8:9], v10
	s_andn2_b64 exec, exec, s[10:11]
	s_cbranch_execnz .LBB4_15
.LBB4_16:
	s_or_b64 exec, exec, s[8:9]
.LBB4_17:
	s_or_b64 exec, exec, s[4:5]
                                        ; implicit-def: $vgpr4
                                        ; implicit-def: $vgpr0
                                        ; implicit-def: $vgpr1
                                        ; implicit-def: $vgpr6
                                        ; implicit-def: $vgpr2
                                        ; implicit-def: $vgpr3
	s_andn2_saveexec_b64 s[6:7], s[6:7]
	s_cbranch_execz .LBB4_2
.LBB4_18:
	v_mov_b32_e32 v8, 0
	v_mov_b32_e32 v5, v8
	v_lshlrev_b64 v[9:10], 2, v[4:5]
	v_lshlrev_b32_e32 v7, 1, v6
	v_add_co_u32_e32 v5, vcc, v0, v9
	v_addc_co_u32_e32 v35, vcc, v1, v10, vcc
	v_lshlrev_b64 v[9:10], 2, v[7:8]
	v_and_b32_e32 v17, 1, v6
	v_add_co_u32_e32 v9, vcc, v5, v9
	v_addc_co_u32_e32 v10, vcc, v35, v10, vcc
	flat_load_dwordx2 v[11:12], v[9:10]
	v_sub_u32_e32 v13, v7, v17
	v_mov_b32_e32 v14, v8
	v_lshlrev_b64 v[15:16], 2, v[13:14]
	v_ashrrev_i32_e32 v14, 31, v13
	v_lshlrev_b64 v[13:14], 2, v[13:14]
	s_movk_i32 s10, 0x7f
	s_waitcnt vmcnt(0) lgkmcnt(0)
	v_cvt_u32_f32_e32 v18, v11
	v_cvt_u32_f32_e32 v19, v12
	v_add_co_u32_e32 v11, vcc, v5, v15
	v_addc_co_u32_e32 v12, vcc, v35, v16, vcc
	v_max_u32_e32 v15, v18, v19
	v_min_u32_e32 v16, v18, v19
	v_cmp_eq_u32_e32 vcc, 0, v17
	v_cndmask_b32_e32 v17, v15, v16, vcc
	v_cndmask_b32_e32 v16, v16, v15, vcc
	v_cvt_f32_u32_e32 v15, v17
	v_cvt_f32_u32_e32 v16, v16
	v_add_co_u32_e32 v13, vcc, v5, v13
	v_addc_co_u32_e32 v14, vcc, v35, v14, vcc
	flat_store_dwordx2 v[9:10], v[15:16]
	s_waitcnt vmcnt(0) lgkmcnt(0)
	s_barrier
	flat_load_dword v15, v[11:12]
	flat_load_dword v16, v[13:14] offset:8
	v_and_b32_e32 v17, 2, v6
	v_cmp_eq_u32_e32 vcc, 0, v17
	v_and_b32_e32 v17, 3, v6
	v_sub_u32_e32 v17, v7, v17
	s_waitcnt vmcnt(0) lgkmcnt(0)
	v_cvt_u32_f32_e32 v15, v15
	v_cvt_u32_f32_e32 v16, v16
	v_max_u32_e32 v18, v15, v16
	v_min_u32_e32 v15, v15, v16
	v_cndmask_b32_e32 v16, v18, v15, vcc
	v_cndmask_b32_e32 v15, v15, v18, vcc
	v_cvt_f32_u32_e32 v16, v16
	v_cvt_f32_u32_e32 v15, v15
	flat_store_dword v[11:12], v16
	flat_store_dword v[13:14], v15 offset:8
	s_waitcnt vmcnt(0) lgkmcnt(0)
	s_barrier
	flat_load_dwordx2 v[15:16], v[9:10]
	v_mov_b32_e32 v18, v8
	v_lshlrev_b64 v[19:20], 2, v[17:18]
	v_ashrrev_i32_e32 v18, 31, v17
	v_lshlrev_b64 v[17:18], 2, v[17:18]
	s_waitcnt vmcnt(0) lgkmcnt(0)
	v_cvt_u32_f32_e32 v21, v15
	v_cvt_u32_f32_e32 v22, v16
	v_add_co_u32_e64 v15, s[4:5], v5, v19
	v_addc_co_u32_e64 v16, s[4:5], v35, v20, s[4:5]
	v_max_u32_e32 v19, v21, v22
	v_min_u32_e32 v20, v21, v22
	v_cndmask_b32_e32 v21, v19, v20, vcc
	v_cndmask_b32_e32 v20, v20, v19, vcc
	v_cvt_f32_u32_e32 v19, v21
	v_cvt_f32_u32_e32 v20, v20
	v_add_co_u32_e32 v17, vcc, v5, v17
	v_addc_co_u32_e32 v18, vcc, v35, v18, vcc
	flat_store_dwordx2 v[9:10], v[19:20]
	s_waitcnt vmcnt(0) lgkmcnt(0)
	s_barrier
	flat_load_dword v19, v[15:16]
	flat_load_dword v20, v[17:18] offset:16
	v_and_b32_e32 v21, 4, v6
	v_cmp_eq_u32_e32 vcc, 0, v21
	s_waitcnt vmcnt(0) lgkmcnt(0)
	v_cvt_u32_f32_e32 v19, v19
	v_cvt_u32_f32_e32 v20, v20
	v_max_u32_e32 v22, v19, v20
	v_min_u32_e32 v19, v19, v20
	v_cndmask_b32_e32 v20, v22, v19, vcc
	v_cndmask_b32_e32 v19, v19, v22, vcc
	v_cvt_f32_u32_e32 v20, v20
	v_cvt_f32_u32_e32 v19, v19
	flat_store_dword v[15:16], v20
	flat_store_dword v[17:18], v19 offset:16
	s_waitcnt vmcnt(0) lgkmcnt(0)
	s_barrier
	flat_load_dword v19, v[11:12]
	flat_load_dword v20, v[13:14] offset:8
	v_mov_b32_e32 v22, v8
	s_waitcnt vmcnt(0) lgkmcnt(0)
	v_cvt_u32_f32_e32 v19, v19
	v_cvt_u32_f32_e32 v20, v20
	v_max_u32_e32 v21, v19, v20
	v_min_u32_e32 v19, v19, v20
	v_cndmask_b32_e32 v20, v21, v19, vcc
	v_cndmask_b32_e32 v19, v19, v21, vcc
	v_cvt_f32_u32_e32 v20, v20
	v_cvt_f32_u32_e32 v19, v19
	flat_store_dword v[11:12], v20
	flat_store_dword v[13:14], v19 offset:8
	s_waitcnt vmcnt(0) lgkmcnt(0)
	s_barrier
	flat_load_dwordx2 v[19:20], v[9:10]
	v_and_b32_e32 v21, 7, v6
	v_sub_u32_e32 v21, v7, v21
	v_lshlrev_b64 v[23:24], 2, v[21:22]
	v_ashrrev_i32_e32 v22, 31, v21
	v_lshlrev_b64 v[21:22], 2, v[21:22]
	s_waitcnt vmcnt(0) lgkmcnt(0)
	v_cvt_u32_f32_e32 v25, v19
	v_cvt_u32_f32_e32 v26, v20
	v_add_co_u32_e64 v19, s[4:5], v5, v23
	v_addc_co_u32_e64 v20, s[4:5], v35, v24, s[4:5]
	v_max_u32_e32 v23, v25, v26
	v_min_u32_e32 v24, v25, v26
	v_cndmask_b32_e32 v25, v23, v24, vcc
	v_cndmask_b32_e32 v24, v24, v23, vcc
	v_cvt_f32_u32_e32 v23, v25
	v_cvt_f32_u32_e32 v24, v24
	v_add_co_u32_e32 v21, vcc, v5, v21
	v_addc_co_u32_e32 v22, vcc, v35, v22, vcc
	flat_store_dwordx2 v[9:10], v[23:24]
	s_waitcnt vmcnt(0) lgkmcnt(0)
	s_barrier
	flat_load_dword v23, v[19:20]
	flat_load_dword v24, v[21:22] offset:32
	v_and_b32_e32 v25, 8, v6
	v_cmp_eq_u32_e32 vcc, 0, v25
	s_waitcnt vmcnt(0) lgkmcnt(0)
	v_cvt_u32_f32_e32 v23, v23
	v_cvt_u32_f32_e32 v24, v24
	v_max_u32_e32 v26, v23, v24
	v_min_u32_e32 v23, v23, v24
	v_cndmask_b32_e32 v24, v26, v23, vcc
	v_cndmask_b32_e32 v23, v23, v26, vcc
	v_cvt_f32_u32_e32 v24, v24
	v_cvt_f32_u32_e32 v23, v23
	flat_store_dword v[19:20], v24
	flat_store_dword v[21:22], v23 offset:32
	s_waitcnt vmcnt(0) lgkmcnt(0)
	s_barrier
	flat_load_dword v23, v[15:16]
	flat_load_dword v24, v[17:18] offset:16
	v_mov_b32_e32 v26, v8
	s_waitcnt vmcnt(0) lgkmcnt(0)
	v_cvt_u32_f32_e32 v23, v23
	v_cvt_u32_f32_e32 v24, v24
	v_max_u32_e32 v25, v23, v24
	v_min_u32_e32 v23, v23, v24
	v_cndmask_b32_e32 v24, v25, v23, vcc
	v_cndmask_b32_e32 v23, v23, v25, vcc
	v_cvt_f32_u32_e32 v24, v24
	v_cvt_f32_u32_e32 v23, v23
	flat_store_dword v[15:16], v24
	flat_store_dword v[17:18], v23 offset:16
	s_waitcnt vmcnt(0) lgkmcnt(0)
	s_barrier
	flat_load_dword v23, v[11:12]
	flat_load_dword v24, v[13:14] offset:8
	s_waitcnt vmcnt(0) lgkmcnt(0)
	v_cvt_u32_f32_e32 v23, v23
	v_cvt_u32_f32_e32 v24, v24
	v_max_u32_e32 v25, v23, v24
	v_min_u32_e32 v23, v23, v24
	v_cndmask_b32_e32 v24, v25, v23, vcc
	v_cndmask_b32_e32 v23, v23, v25, vcc
	v_cvt_f32_u32_e32 v24, v24
	v_cvt_f32_u32_e32 v23, v23
	flat_store_dword v[11:12], v24
	flat_store_dword v[13:14], v23 offset:8
	s_waitcnt vmcnt(0) lgkmcnt(0)
	s_barrier
	flat_load_dwordx2 v[23:24], v[9:10]
	v_and_b32_e32 v25, 15, v6
	v_sub_u32_e32 v25, v7, v25
	v_lshlrev_b64 v[27:28], 2, v[25:26]
	v_ashrrev_i32_e32 v26, 31, v25
	v_lshlrev_b64 v[25:26], 2, v[25:26]
	s_waitcnt vmcnt(0) lgkmcnt(0)
	v_cvt_u32_f32_e32 v29, v23
	v_cvt_u32_f32_e32 v30, v24
	v_add_co_u32_e64 v23, s[4:5], v5, v27
	v_addc_co_u32_e64 v24, s[4:5], v35, v28, s[4:5]
	v_max_u32_e32 v27, v29, v30
	v_min_u32_e32 v28, v29, v30
	v_cndmask_b32_e32 v29, v27, v28, vcc
	v_cndmask_b32_e32 v28, v28, v27, vcc
	v_cvt_f32_u32_e32 v27, v29
	v_cvt_f32_u32_e32 v28, v28
	v_add_co_u32_e32 v25, vcc, v5, v25
	v_addc_co_u32_e32 v26, vcc, v35, v26, vcc
	flat_store_dwordx2 v[9:10], v[27:28]
	s_waitcnt vmcnt(0) lgkmcnt(0)
	s_barrier
	flat_load_dword v27, v[23:24]
	flat_load_dword v28, v[25:26] offset:64
	v_and_b32_e32 v29, 16, v6
	v_cmp_eq_u32_e32 vcc, 0, v29
	s_waitcnt vmcnt(0) lgkmcnt(0)
	v_cvt_u32_f32_e32 v27, v27
	v_cvt_u32_f32_e32 v28, v28
	v_max_u32_e32 v30, v27, v28
	v_min_u32_e32 v27, v27, v28
	v_cndmask_b32_e32 v28, v30, v27, vcc
	v_cndmask_b32_e32 v27, v27, v30, vcc
	v_cvt_f32_u32_e32 v28, v28
	v_cvt_f32_u32_e32 v27, v27
	flat_store_dword v[23:24], v28
	flat_store_dword v[25:26], v27 offset:64
	s_waitcnt vmcnt(0) lgkmcnt(0)
	s_barrier
	flat_load_dword v27, v[19:20]
	flat_load_dword v28, v[21:22] offset:32
	v_mov_b32_e32 v30, v8
	s_waitcnt vmcnt(0) lgkmcnt(0)
	v_cvt_u32_f32_e32 v27, v27
	v_cvt_u32_f32_e32 v28, v28
	v_max_u32_e32 v29, v27, v28
	v_min_u32_e32 v27, v27, v28
	v_cndmask_b32_e32 v28, v29, v27, vcc
	v_cndmask_b32_e32 v27, v27, v29, vcc
	v_cvt_f32_u32_e32 v28, v28
	v_cvt_f32_u32_e32 v27, v27
	flat_store_dword v[19:20], v28
	flat_store_dword v[21:22], v27 offset:32
	s_waitcnt vmcnt(0) lgkmcnt(0)
	s_barrier
	flat_load_dword v27, v[15:16]
	flat_load_dword v28, v[17:18] offset:16
	s_waitcnt vmcnt(0) lgkmcnt(0)
	v_cvt_u32_f32_e32 v27, v27
	v_cvt_u32_f32_e32 v28, v28
	v_max_u32_e32 v29, v27, v28
	v_min_u32_e32 v27, v27, v28
	v_cndmask_b32_e32 v28, v29, v27, vcc
	v_cndmask_b32_e32 v27, v27, v29, vcc
	v_cvt_f32_u32_e32 v28, v28
	v_cvt_f32_u32_e32 v27, v27
	flat_store_dword v[15:16], v28
	flat_store_dword v[17:18], v27 offset:16
	s_waitcnt vmcnt(0) lgkmcnt(0)
	s_barrier
	flat_load_dword v27, v[11:12]
	flat_load_dword v28, v[13:14] offset:8
	s_waitcnt vmcnt(0) lgkmcnt(0)
	v_cvt_u32_f32_e32 v27, v27
	v_cvt_u32_f32_e32 v28, v28
	v_max_u32_e32 v29, v27, v28
	v_min_u32_e32 v27, v27, v28
	v_cndmask_b32_e32 v28, v29, v27, vcc
	v_cndmask_b32_e32 v27, v27, v29, vcc
	v_cvt_f32_u32_e32 v28, v28
	v_cvt_f32_u32_e32 v27, v27
	flat_store_dword v[11:12], v28
	flat_store_dword v[13:14], v27 offset:8
	s_waitcnt vmcnt(0) lgkmcnt(0)
	s_barrier
	flat_load_dwordx2 v[27:28], v[9:10]
	v_and_b32_e32 v29, 31, v6
	v_sub_u32_e32 v29, v7, v29
	v_lshlrev_b64 v[31:32], 2, v[29:30]
	v_ashrrev_i32_e32 v30, 31, v29
	v_lshlrev_b64 v[29:30], 2, v[29:30]
	s_waitcnt vmcnt(0) lgkmcnt(0)
	v_cvt_u32_f32_e32 v33, v27
	v_cvt_u32_f32_e32 v34, v28
	v_add_co_u32_e64 v27, s[4:5], v5, v31
	v_addc_co_u32_e64 v28, s[4:5], v35, v32, s[4:5]
	v_max_u32_e32 v31, v33, v34
	v_min_u32_e32 v32, v33, v34
	v_cndmask_b32_e32 v33, v31, v32, vcc
	v_cndmask_b32_e32 v32, v32, v31, vcc
	v_cvt_f32_u32_e32 v31, v33
	v_cvt_f32_u32_e32 v32, v32
	v_add_co_u32_e32 v29, vcc, v5, v29
	v_addc_co_u32_e32 v30, vcc, v35, v30, vcc
	flat_store_dwordx2 v[9:10], v[31:32]
	s_waitcnt vmcnt(0) lgkmcnt(0)
	s_barrier
	flat_load_dword v31, v[27:28]
	flat_load_dword v32, v[29:30] offset:128
	v_and_b32_e32 v33, 32, v6
	v_cmp_eq_u32_e32 vcc, 0, v33
	s_waitcnt vmcnt(0) lgkmcnt(0)
	v_cvt_u32_f32_e32 v31, v31
	v_cvt_u32_f32_e32 v32, v32
	v_max_u32_e32 v34, v31, v32
	v_min_u32_e32 v31, v31, v32
	v_cndmask_b32_e32 v32, v34, v31, vcc
	v_cndmask_b32_e32 v31, v31, v34, vcc
	v_cvt_f32_u32_e32 v32, v32
	v_cvt_f32_u32_e32 v31, v31
	flat_store_dword v[27:28], v32
	flat_store_dword v[29:30], v31 offset:128
	s_waitcnt vmcnt(0) lgkmcnt(0)
	s_barrier
	flat_load_dword v31, v[23:24]
	flat_load_dword v32, v[25:26] offset:64
	v_mov_b32_e32 v34, v8
	s_waitcnt vmcnt(0) lgkmcnt(0)
	v_cvt_u32_f32_e32 v31, v31
	v_cvt_u32_f32_e32 v32, v32
	v_max_u32_e32 v33, v31, v32
	v_min_u32_e32 v31, v31, v32
	v_cndmask_b32_e32 v32, v33, v31, vcc
	v_cndmask_b32_e32 v31, v31, v33, vcc
	v_cvt_f32_u32_e32 v32, v32
	v_cvt_f32_u32_e32 v31, v31
	flat_store_dword v[23:24], v32
	flat_store_dword v[25:26], v31 offset:64
	s_waitcnt vmcnt(0) lgkmcnt(0)
	s_barrier
	flat_load_dword v31, v[19:20]
	flat_load_dword v32, v[21:22] offset:32
	s_waitcnt vmcnt(0) lgkmcnt(0)
	v_cvt_u32_f32_e32 v31, v31
	v_cvt_u32_f32_e32 v32, v32
	v_max_u32_e32 v33, v31, v32
	v_min_u32_e32 v31, v31, v32
	v_cndmask_b32_e32 v32, v33, v31, vcc
	v_cndmask_b32_e32 v31, v31, v33, vcc
	v_cvt_f32_u32_e32 v32, v32
	v_cvt_f32_u32_e32 v31, v31
	flat_store_dword v[19:20], v32
	flat_store_dword v[21:22], v31 offset:32
	s_waitcnt vmcnt(0) lgkmcnt(0)
	s_barrier
	flat_load_dword v31, v[15:16]
	flat_load_dword v32, v[17:18] offset:16
	;; [unrolled: 15-line block ×3, first 2 shown]
	s_waitcnt vmcnt(0) lgkmcnt(0)
	v_cvt_u32_f32_e32 v31, v31
	v_cvt_u32_f32_e32 v32, v32
	v_max_u32_e32 v33, v31, v32
	v_min_u32_e32 v31, v31, v32
	v_cndmask_b32_e32 v32, v33, v31, vcc
	v_cndmask_b32_e32 v31, v31, v33, vcc
	v_cvt_f32_u32_e32 v32, v32
	v_cvt_f32_u32_e32 v31, v31
	flat_store_dword v[11:12], v32
	flat_store_dword v[13:14], v31 offset:8
	s_waitcnt vmcnt(0) lgkmcnt(0)
	s_barrier
	flat_load_dwordx2 v[31:32], v[9:10]
	v_and_b32_e32 v33, 63, v6
	v_sub_u32_e32 v33, v7, v33
	v_lshlrev_b64 v[36:37], 2, v[33:34]
	v_ashrrev_i32_e32 v34, 31, v33
	v_lshlrev_b64 v[33:34], 2, v[33:34]
	s_waitcnt vmcnt(0) lgkmcnt(0)
	v_cvt_u32_f32_e32 v38, v31
	v_cvt_u32_f32_e32 v39, v32
	v_add_co_u32_e64 v31, s[4:5], v5, v36
	v_addc_co_u32_e64 v32, s[4:5], v35, v37, s[4:5]
	v_max_u32_e32 v36, v38, v39
	v_min_u32_e32 v37, v38, v39
	v_cndmask_b32_e32 v38, v36, v37, vcc
	v_cndmask_b32_e32 v37, v37, v36, vcc
	v_cvt_f32_u32_e32 v36, v38
	v_cvt_f32_u32_e32 v37, v37
	v_add_co_u32_e32 v33, vcc, v5, v33
	v_addc_co_u32_e32 v34, vcc, v35, v34, vcc
	flat_store_dwordx2 v[9:10], v[36:37]
	s_waitcnt vmcnt(0) lgkmcnt(0)
	s_barrier
	flat_load_dword v36, v[31:32]
	flat_load_dword v37, v[33:34] offset:256
	v_and_b32_e32 v38, 64, v6
	v_cmp_eq_u32_e32 vcc, 0, v38
	s_waitcnt vmcnt(0) lgkmcnt(0)
	v_cvt_u32_f32_e32 v36, v36
	v_cvt_u32_f32_e32 v37, v37
	v_max_u32_e32 v39, v36, v37
	v_min_u32_e32 v36, v36, v37
	v_cndmask_b32_e32 v37, v39, v36, vcc
	v_cndmask_b32_e32 v36, v36, v39, vcc
	v_cvt_f32_u32_e32 v37, v37
	v_cvt_f32_u32_e32 v36, v36
	flat_store_dword v[31:32], v37
	flat_store_dword v[33:34], v36 offset:256
	s_waitcnt vmcnt(0) lgkmcnt(0)
	s_barrier
	flat_load_dword v36, v[27:28]
	flat_load_dword v37, v[29:30] offset:128
	s_waitcnt vmcnt(0) lgkmcnt(0)
	v_cvt_u32_f32_e32 v36, v36
	v_cvt_u32_f32_e32 v37, v37
	v_max_u32_e32 v38, v36, v37
	v_min_u32_e32 v36, v36, v37
	v_cndmask_b32_e32 v37, v38, v36, vcc
	v_cndmask_b32_e32 v36, v36, v38, vcc
	v_cvt_f32_u32_e32 v37, v37
	v_cvt_f32_u32_e32 v36, v36
	flat_store_dword v[27:28], v37
	flat_store_dword v[29:30], v36 offset:128
	s_waitcnt vmcnt(0) lgkmcnt(0)
	s_barrier
	flat_load_dword v36, v[23:24]
	flat_load_dword v37, v[25:26] offset:64
	s_waitcnt vmcnt(0) lgkmcnt(0)
	v_cvt_u32_f32_e32 v36, v36
	v_cvt_u32_f32_e32 v37, v37
	v_max_u32_e32 v38, v36, v37
	v_min_u32_e32 v36, v36, v37
	v_cndmask_b32_e32 v37, v38, v36, vcc
	v_cndmask_b32_e32 v36, v36, v38, vcc
	v_cvt_f32_u32_e32 v37, v37
	v_cvt_f32_u32_e32 v36, v36
	flat_store_dword v[23:24], v37
	flat_store_dword v[25:26], v36 offset:64
	s_waitcnt vmcnt(0) lgkmcnt(0)
	s_barrier
	flat_load_dword v36, v[19:20]
	flat_load_dword v37, v[21:22] offset:32
	s_waitcnt vmcnt(0) lgkmcnt(0)
	v_cvt_u32_f32_e32 v36, v36
	v_cvt_u32_f32_e32 v37, v37
	v_max_u32_e32 v38, v36, v37
	v_min_u32_e32 v36, v36, v37
	v_cndmask_b32_e32 v37, v38, v36, vcc
	v_cndmask_b32_e32 v36, v36, v38, vcc
	v_cvt_f32_u32_e32 v37, v37
	v_cvt_f32_u32_e32 v36, v36
	flat_store_dword v[19:20], v37
	flat_store_dword v[21:22], v36 offset:32
	s_waitcnt vmcnt(0) lgkmcnt(0)
	s_barrier
	flat_load_dword v36, v[15:16]
	flat_load_dword v37, v[17:18] offset:16
	s_waitcnt vmcnt(0) lgkmcnt(0)
	v_cvt_u32_f32_e32 v36, v36
	v_cvt_u32_f32_e32 v37, v37
	v_max_u32_e32 v38, v36, v37
	v_min_u32_e32 v36, v36, v37
	v_cndmask_b32_e32 v37, v38, v36, vcc
	v_cndmask_b32_e32 v36, v36, v38, vcc
	v_cvt_f32_u32_e32 v37, v37
	v_cvt_f32_u32_e32 v36, v36
	flat_store_dword v[15:16], v37
	flat_store_dword v[17:18], v36 offset:16
	s_waitcnt vmcnt(0) lgkmcnt(0)
	s_barrier
	flat_load_dword v36, v[11:12]
	flat_load_dword v37, v[13:14] offset:8
	s_waitcnt vmcnt(0) lgkmcnt(0)
	v_cvt_u32_f32_e32 v36, v36
	v_cvt_u32_f32_e32 v37, v37
	v_max_u32_e32 v38, v36, v37
	v_min_u32_e32 v36, v36, v37
	v_cndmask_b32_e32 v37, v38, v36, vcc
	v_cndmask_b32_e32 v36, v36, v38, vcc
	v_cvt_f32_u32_e32 v37, v37
	v_cvt_f32_u32_e32 v36, v36
	flat_store_dword v[11:12], v37
	flat_store_dword v[13:14], v36 offset:8
	s_waitcnt vmcnt(0) lgkmcnt(0)
	s_barrier
	flat_load_dwordx2 v[36:37], v[9:10]
	v_and_b32_e32 v38, 0x7f, v6
	v_sub_u32_e32 v7, v7, v38
	v_lshlrev_b64 v[38:39], 2, v[7:8]
	v_ashrrev_i32_e32 v49, 31, v7
	v_mov_b32_e32 v48, v7
	v_lshlrev_b64 v[48:49], 2, v[48:49]
	s_waitcnt vmcnt(0) lgkmcnt(0)
	v_cvt_u32_f32_e32 v7, v36
	v_cvt_u32_f32_e32 v50, v37
	v_add_co_u32_e64 v36, s[4:5], v5, v38
	v_addc_co_u32_e64 v37, s[4:5], v35, v39, s[4:5]
	v_max_u32_e32 v38, v7, v50
	v_min_u32_e32 v7, v7, v50
	v_cndmask_b32_e32 v39, v38, v7, vcc
	v_cndmask_b32_e32 v7, v7, v38, vcc
	v_cvt_f32_u32_e32 v38, v39
	v_cvt_f32_u32_e32 v39, v7
	v_add_co_u32_e32 v48, vcc, v5, v48
	v_addc_co_u32_e32 v49, vcc, v35, v49, vcc
	flat_store_dwordx2 v[9:10], v[38:39]
	s_waitcnt vmcnt(0) lgkmcnt(0)
	s_barrier
	flat_load_dword v5, v[36:37]
	flat_load_dword v7, v[48:49] offset:512
	s_movk_i32 s4, 0x100
	v_cmp_gt_u32_e32 vcc, s4, v6
	s_waitcnt vmcnt(0) lgkmcnt(0)
	v_cvt_u32_f32_e32 v5, v5
	v_cvt_u32_f32_e32 v7, v7
	v_min_u32_e32 v35, v5, v7
	v_max_u32_e32 v5, v5, v7
	v_cvt_f32_u32_e32 v7, v35
	v_cvt_f32_u32_e32 v5, v5
	flat_store_dword v[36:37], v7
	flat_store_dword v[48:49], v5 offset:512
	s_waitcnt vmcnt(0) lgkmcnt(0)
	s_barrier
	flat_load_dword v5, v[31:32]
	flat_load_dword v7, v[33:34] offset:256
	s_waitcnt vmcnt(0) lgkmcnt(0)
	v_cvt_u32_f32_e32 v5, v5
	v_cvt_u32_f32_e32 v7, v7
	v_min_u32_e32 v35, v5, v7
	v_max_u32_e32 v5, v5, v7
	v_cvt_f32_u32_e32 v7, v35
	v_cvt_f32_u32_e32 v5, v5
	flat_store_dword v[31:32], v7
	flat_store_dword v[33:34], v5 offset:256
	s_waitcnt vmcnt(0) lgkmcnt(0)
	s_barrier
	flat_load_dword v5, v[27:28]
	flat_load_dword v7, v[29:30] offset:128
	s_waitcnt vmcnt(0) lgkmcnt(0)
	v_cvt_u32_f32_e32 v5, v5
	v_cvt_u32_f32_e32 v7, v7
	v_min_u32_e32 v31, v5, v7
	v_max_u32_e32 v5, v5, v7
	v_cvt_f32_u32_e32 v7, v31
	v_cvt_f32_u32_e32 v5, v5
	flat_store_dword v[27:28], v7
	flat_store_dword v[29:30], v5 offset:128
	s_waitcnt vmcnt(0) lgkmcnt(0)
	s_barrier
	flat_load_dword v5, v[23:24]
	flat_load_dword v7, v[25:26] offset:64
	s_waitcnt vmcnt(0) lgkmcnt(0)
	v_cvt_u32_f32_e32 v5, v5
	v_cvt_u32_f32_e32 v7, v7
	v_min_u32_e32 v27, v5, v7
	v_max_u32_e32 v5, v5, v7
	v_cvt_f32_u32_e32 v7, v27
	v_cvt_f32_u32_e32 v5, v5
	flat_store_dword v[23:24], v7
	flat_store_dword v[25:26], v5 offset:64
	s_waitcnt vmcnt(0) lgkmcnt(0)
	s_barrier
	flat_load_dword v5, v[19:20]
	flat_load_dword v7, v[21:22] offset:32
	s_waitcnt vmcnt(0) lgkmcnt(0)
	v_cvt_u32_f32_e32 v5, v5
	v_cvt_u32_f32_e32 v7, v7
	v_min_u32_e32 v23, v5, v7
	v_max_u32_e32 v5, v5, v7
	v_cvt_f32_u32_e32 v7, v23
	v_cvt_f32_u32_e32 v5, v5
	flat_store_dword v[19:20], v7
	flat_store_dword v[21:22], v5 offset:32
	s_waitcnt vmcnt(0) lgkmcnt(0)
	s_barrier
	flat_load_dword v5, v[15:16]
	flat_load_dword v7, v[17:18] offset:16
	s_waitcnt vmcnt(0) lgkmcnt(0)
	v_cvt_u32_f32_e32 v5, v5
	v_cvt_u32_f32_e32 v7, v7
	v_min_u32_e32 v19, v5, v7
	v_max_u32_e32 v5, v5, v7
	v_cvt_f32_u32_e32 v7, v19
	v_cvt_f32_u32_e32 v5, v5
	flat_store_dword v[15:16], v7
	flat_store_dword v[17:18], v5 offset:16
	s_waitcnt vmcnt(0) lgkmcnt(0)
	s_barrier
	flat_load_dword v5, v[11:12]
	flat_load_dword v7, v[13:14] offset:8
	s_waitcnt vmcnt(0) lgkmcnt(0)
	v_cvt_u32_f32_e32 v5, v5
	v_cvt_u32_f32_e32 v7, v7
	v_min_u32_e32 v15, v5, v7
	v_max_u32_e32 v5, v5, v7
	v_cvt_f32_u32_e32 v7, v15
	v_cvt_f32_u32_e32 v5, v5
	flat_store_dword v[11:12], v7
	flat_store_dword v[13:14], v5 offset:8
	s_waitcnt vmcnt(0) lgkmcnt(0)
	s_barrier
	flat_load_dwordx2 v[11:12], v[9:10]
	s_waitcnt vmcnt(0) lgkmcnt(0)
	v_cvt_u32_f32_e32 v5, v11
	v_cvt_u32_f32_e32 v7, v12
	v_min_u32_e32 v11, v5, v7
	v_max_u32_e32 v5, v5, v7
	v_cvt_f32_u32_e32 v11, v11
	v_cvt_f32_u32_e32 v12, v5
	flat_store_dwordx2 v[9:10], v[11:12]
	s_waitcnt vmcnt(0) lgkmcnt(0)
	s_barrier
	s_and_saveexec_b64 s[4:5], vcc
	s_cbranch_execz .LBB4_21
; %bb.19:
	s_mov_b64 s[8:9], 0
.LBB4_20:                               ; =>This Inner Loop Header: Depth=1
	v_add_u32_e32 v7, v4, v6
	v_lshlrev_b64 v[9:10], 2, v[7:8]
	v_add_u32_e32 v7, 0x80, v6
	v_add_co_u32_e32 v11, vcc, v0, v9
	v_addc_co_u32_e32 v12, vcc, v1, v10, vcc
	flat_load_dword v5, v[11:12]
	v_cmp_lt_u32_e32 vcc, s10, v6
	s_or_b64 s[8:9], vcc, s[8:9]
	v_add_co_u32_e32 v9, vcc, v2, v9
	v_mov_b32_e32 v6, v7
	v_addc_co_u32_e32 v10, vcc, v3, v10, vcc
	s_waitcnt vmcnt(0) lgkmcnt(0)
	flat_store_dword v[9:10], v5
	s_andn2_b64 exec, exec, s[8:9]
	s_cbranch_execnz .LBB4_20
.LBB4_21:
	s_or_b64 exec, exec, s[4:5]
	s_or_b64 exec, exec, s[6:7]
	s_waitcnt vmcnt(0) lgkmcnt(0)
	s_setpc_b64 s[30:31]
.Lfunc_end4:
	.size	_Z14sort_thresholdIfEvPT_S1_jjS1_j, .Lfunc_end4-_Z14sort_thresholdIfEvPT_S1_jjS1_j
                                        ; -- End function
	.set .L_Z14sort_thresholdIfEvPT_S1_jjS1_j.num_vgpr, 51
	.set .L_Z14sort_thresholdIfEvPT_S1_jjS1_j.num_agpr, 0
	.set .L_Z14sort_thresholdIfEvPT_S1_jjS1_j.numbered_sgpr, 32
	.set .L_Z14sort_thresholdIfEvPT_S1_jjS1_j.num_named_barrier, 0
	.set .L_Z14sort_thresholdIfEvPT_S1_jjS1_j.private_seg_size, 0
	.set .L_Z14sort_thresholdIfEvPT_S1_jjS1_j.uses_vcc, 1
	.set .L_Z14sort_thresholdIfEvPT_S1_jjS1_j.uses_flat_scratch, 0
	.set .L_Z14sort_thresholdIfEvPT_S1_jjS1_j.has_dyn_sized_stack, 0
	.set .L_Z14sort_thresholdIfEvPT_S1_jjS1_j.has_recursion, 0
	.set .L_Z14sort_thresholdIfEvPT_S1_jjS1_j.has_indirect_call, 0
	.section	.AMDGPU.csdata,"",@progbits
; Function info:
; codeLenInByte = 5868
; TotalNumSgprs: 36
; NumVgprs: 51
; ScratchSize: 0
; MemoryBound: 0
	.section	.text._Z13lqsort_kernelIfEvPT_S1_P11work_recordIS0_E,"axG",@progbits,_Z13lqsort_kernelIfEvPT_S1_P11work_recordIS0_E,comdat
	.protected	_Z13lqsort_kernelIfEvPT_S1_P11work_recordIS0_E ; -- Begin function _Z13lqsort_kernelIfEvPT_S1_P11work_recordIS0_E
	.globl	_Z13lqsort_kernelIfEvPT_S1_P11work_recordIS0_E
	.p2align	8
	.type	_Z13lqsort_kernelIfEvPT_S1_P11work_recordIS0_E,@function
_Z13lqsort_kernelIfEvPT_S1_P11work_recordIS0_E: ; @_Z13lqsort_kernelIfEvPT_S1_P11work_recordIS0_E
; %bb.0:
	s_mov_b64 s[16:17], s[4:5]
	s_load_dwordx2 s[4:5], s[4:5], 0x10
	s_add_u32 s0, s0, s7
	s_mov_b32 s7, 0
	s_addc_u32 s1, s1, 0
	s_lshl_b64 s[6:7], s[6:7], 4
	s_load_dwordx4 s[40:43], s[16:17], 0x0
	s_waitcnt lgkmcnt(0)
	s_add_u32 s4, s4, s6
	v_mov_b32_e32 v42, v0
	s_addc_u32 s5, s5, s7
	v_mov_b32_e32 v0, 0
	global_load_dwordx2 v[45:46], v0, s[4:5]
	global_load_dword v3, v0, s[4:5] offset:12
	v_cmp_eq_u32_e64 s[18:19], 0, v42
	s_movk_i32 s32, 0x800
	s_waitcnt vmcnt(1)
	v_sub_u32_e32 v1, v46, v45
	s_and_saveexec_b64 s[4:5], s[18:19]
	s_cbranch_execz .LBB5_2
; %bb.1:
	v_mov_b32_e32 v2, 1
	ds_write_b32 v0, v0 offset:15364
	ds_write_b96 v0, v[0:2] offset:15904
.LBB5_2:
	s_or_b64 exec, exec, s[4:5]
	s_waitcnt vmcnt(0)
	v_cmp_eq_u32_e32 vcc, 1, v3
	v_cmp_lt_u32_e64 s[4:5], v42, v1
	s_mov_b64 s[6:7], -1
	s_cbranch_vccnz .LBB5_7
; %bb.3:
	s_and_saveexec_b64 s[6:7], s[4:5]
	s_cbranch_execz .LBB5_6
; %bb.4:
	v_lshlrev_b32_e32 v0, 2, v42
	s_mov_b64 s[8:9], 0
	v_mov_b32_e32 v3, 0
	v_mov_b32_e32 v4, s43
	v_mov_b32_e32 v5, v42
.LBB5_5:                                ; =>This Inner Loop Header: Depth=1
	v_add_u32_e32 v2, v45, v5
	v_lshlrev_b64 v[6:7], 2, v[2:3]
	v_add_u32_e32 v5, 0x80, v5
	v_add_co_u32_e32 v6, vcc, s42, v6
	v_addc_co_u32_e32 v7, vcc, v4, v7, vcc
	global_load_dword v2, v[6:7], off
	v_cmp_ge_u32_e32 vcc, v5, v1
	s_or_b64 s[8:9], vcc, s[8:9]
	s_waitcnt vmcnt(0)
	ds_write_b32 v0, v2
	v_add_u32_e32 v0, 0x200, v0
	s_andn2_b64 exec, exec, s[8:9]
	s_cbranch_execnz .LBB5_5
.LBB5_6:
	s_or_b64 exec, exec, s[6:7]
	s_mov_b64 s[6:7], 0
.LBB5_7:
	s_andn2_b64 vcc, exec, s[6:7]
	s_cbranch_vccnz .LBB5_12
; %bb.8:
	s_and_saveexec_b64 s[6:7], s[4:5]
	s_cbranch_execz .LBB5_11
; %bb.9:
	v_lshlrev_b32_e32 v0, 2, v42
	s_mov_b64 s[4:5], 0
	v_mov_b32_e32 v3, 0
	v_mov_b32_e32 v4, s41
	v_mov_b32_e32 v5, v42
.LBB5_10:                               ; =>This Inner Loop Header: Depth=1
	v_add_u32_e32 v2, v45, v5
	v_lshlrev_b64 v[6:7], 2, v[2:3]
	v_add_u32_e32 v5, 0x80, v5
	v_add_co_u32_e32 v6, vcc, s40, v6
	v_addc_co_u32_e32 v7, vcc, v4, v7, vcc
	global_load_dword v2, v[6:7], off
	v_cmp_ge_u32_e32 vcc, v5, v1
	s_or_b64 s[4:5], vcc, s[4:5]
	s_waitcnt vmcnt(0)
	ds_write_b32 v0, v2
	v_add_u32_e32 v0, 0x200, v0
	s_andn2_b64 exec, exec, s[4:5]
	s_cbranch_execnz .LBB5_10
.LBB5_11:
	s_or_b64 exec, exec, s[6:7]
.LBB5_12:
	v_mov_b32_e32 v47, 0
	s_waitcnt lgkmcnt(0)
	s_barrier
	ds_read_b32 v0, v47 offset:15364
	s_waitcnt lgkmcnt(0)
	v_cmp_gt_i32_e32 vcc, 0, v0
	s_cbranch_vccnz .LBB5_75
; %bb.13:
	v_mov_b32_e32 v46, v47
	v_lshlrev_b64 v[1:2], 2, v[45:46]
	v_mov_b32_e32 v4, s41
	v_add_co_u32_e32 v1, vcc, s40, v1
	buffer_store_dword v1, off, s[0:3], 0   ; 4-byte Folded Spill
	v_addc_co_u32_e32 v1, vcc, v4, v2, vcc
	v_lshlrev_b32_e32 v3, 2, v42
	buffer_store_dword v1, off, s[0:3], 0 offset:4 ; 4-byte Folded Spill
	v_and_b32_e32 v1, 1, v42
	v_cmp_eq_u32_e64 s[20:21], 1, v1
	v_add_u32_e32 v1, 0x3c0c, v3
	buffer_store_dword v1, off, s[0:3], 0 offset:8 ; 4-byte Folded Spill
	v_add_u32_e32 v1, 0x39fc, v3
	buffer_store_dword v1, off, s[0:3], 0 offset:12 ; 4-byte Folded Spill
	v_and_b32_e32 v1, 3, v42
	v_cmp_eq_u32_e64 s[22:23], 3, v1
	v_add_u32_e32 v1, 0x3c08, v3
	buffer_store_dword v1, off, s[0:3], 0 offset:16 ; 4-byte Folded Spill
	v_add_u32_e32 v1, 0x39f8, v3
	buffer_store_dword v1, off, s[0:3], 0 offset:20 ; 4-byte Folded Spill
	v_and_b32_e32 v1, 7, v42
	v_cmp_eq_u32_e64 s[24:25], 7, v1
	v_and_b32_e32 v1, 15, v42
	v_cmp_eq_u32_e64 s[26:27], 15, v1
	v_and_b32_e32 v1, 31, v42
	s_movk_i32 s4, 0x3c00
	v_cmp_eq_u32_e64 s[28:29], 31, v1
	v_and_b32_e32 v1, 63, v42
	v_cmp_eq_u32_e64 s[34:35], 63, v1
	s_movk_i32 s5, 0x7f
	v_and_b32_e32 v1, 0x7f, v42
	v_add_u32_e64 v54, s4, 0
	s_movk_i32 s4, 0x3800
	s_mov_b64 s[38:39], src_shared_base
	v_add_u32_e32 v51, 0x3a00, v3
	v_add_u32_e32 v52, 0x3c10, v3
	;; [unrolled: 1-line block ×10, first 2 shown]
	v_cmp_eq_u32_e64 s[36:37], s5, v1
	v_add_u32_e32 v44, 0x3b10, v3
	v_add_u32_e32 v53, 0x3900, v3
	s_movk_i32 s15, 0x100
	v_add_u32_e64 v55, s4, 0
	s_branch .LBB5_15
.LBB5_14:                               ;   in Loop: Header=BB5_15 Depth=1
	ds_read_b32 v0, v47 offset:15364
	s_waitcnt lgkmcnt(0)
	v_cmp_lt_i32_e32 vcc, -1, v0
	s_cbranch_vccz .LBB5_75
.LBB5_15:                               ; =>This Loop Header: Depth=1
                                        ;     Child Loop BB5_21 Depth 2
                                        ;     Child Loop BB5_56 Depth 2
	;; [unrolled: 1-line block ×3, first 2 shown]
	v_mul_lo_u32 v0, v0, 12
	v_add_u32_e32 v1, 0x3e20, v0
	ds_read2_b32 v[40:41], v1 offset1:1
	ds_read_b32 v56, v0 offset:15912
	s_waitcnt vmcnt(0) lgkmcnt(0)
	s_barrier
	s_and_saveexec_b64 s[4:5], s[18:19]
	s_cbranch_execz .LBB5_17
; %bb.16:                               ;   in Loop: Header=BB5_15 Depth=1
	ds_read_b32 v0, v47 offset:15364
	s_waitcnt lgkmcnt(0)
	v_add_u32_e32 v0, -1, v0
	ds_write2_b32 v54, v0, v47 offset0:1 offset1:133
	ds_write_b32 v47, v47 offset:15976
.LBB5_17:                               ;   in Loop: Header=BB5_15 Depth=1
	s_or_b64 exec, exec, s[4:5]
	v_cmp_eq_u32_e32 vcc, 1, v56
	v_mov_b32_e32 v2, 0x1b00
	v_cndmask_b32_e64 v0, v2, 0, vcc
	v_mov_b32_e32 v1, s39
	v_cndmask_b32_e32 v2, 0, v2, vcc
	v_mov_b32_e32 v3, s39
	ds_write2_b64 v55, v[0:1], v[2:3] offset0:129 offset1:195
	ds_write_b32 v51, v47
	ds_write_b32 v52, v47
	s_waitcnt lgkmcnt(0)
	s_barrier
	ds_read_b64 v[0:1], v47 offset:15368
	v_mov_b32_e32 v46, v40
	v_lshlrev_b64 v[2:3], 2, v[46:47]
	s_waitcnt lgkmcnt(0)
	v_add_co_u32_e32 v2, vcc, v0, v2
	v_addc_co_u32_e32 v3, vcc, v1, v3, vcc
	flat_load_dword v2, v[2:3]
	v_cmp_ge_u32_e32 vcc, v40, v41
	s_waitcnt vmcnt(0) lgkmcnt(0)
	v_cvt_u32_f32_e32 v8, v2
	s_cbranch_vccnz .LBB5_19
; %bb.18:                               ;   in Loop: Header=BB5_15 Depth=1
	v_add_u32_e32 v2, v41, v40
	v_lshrrev_b32_e32 v46, 1, v2
	v_lshlrev_b64 v[2:3], 2, v[46:47]
	v_add_u32_e32 v46, -1, v41
	v_add_co_u32_e32 v2, vcc, v0, v2
	v_addc_co_u32_e32 v3, vcc, v1, v3, vcc
	flat_load_dword v4, v[2:3]
	v_lshlrev_b64 v[2:3], 2, v[46:47]
	v_add_co_u32_e32 v2, vcc, v0, v2
	v_addc_co_u32_e32 v3, vcc, v1, v3, vcc
	flat_load_dword v2, v[2:3]
	s_waitcnt vmcnt(0) lgkmcnt(0)
	v_cvt_u32_f32_e32 v3, v4
	v_max_u32_e32 v4, v8, v3
	v_min_u32_e32 v3, v8, v3
	v_cvt_u32_f32_e32 v2, v2
	v_max_u32_e32 v3, v3, v2
	v_cmp_lt_u32_e32 vcc, v4, v2
	v_cndmask_b32_e32 v8, v3, v4, vcc
.LBB5_19:                               ;   in Loop: Header=BB5_15 Depth=1
	v_add_u32_e32 v9, v40, v42
	v_cmp_lt_u32_e32 vcc, v9, v41
	v_mov_b32_e32 v2, 0
	v_mov_b32_e32 v3, 0
	s_and_saveexec_b64 s[6:7], vcc
	s_cbranch_execz .LBB5_23
; %bb.20:                               ;   in Loop: Header=BB5_15 Depth=1
	v_mov_b32_e32 v2, 0
	s_mov_b64 s[8:9], 0
	v_mov_b32_e32 v46, v9
	v_mov_b32_e32 v3, 0
.LBB5_21:                               ;   Parent Loop BB5_15 Depth=1
                                        ; =>  This Inner Loop Header: Depth=2
	v_lshlrev_b64 v[4:5], 2, v[46:47]
	v_add_u32_e32 v46, 0x80, v46
	v_add_co_u32_e64 v4, s[4:5], v0, v4
	v_addc_co_u32_e64 v5, s[4:5], v1, v5, s[4:5]
	flat_load_dword v4, v[4:5]
	v_cmp_ge_u32_e64 s[4:5], v46, v41
	s_or_b64 s[8:9], s[4:5], s[8:9]
	s_waitcnt vmcnt(0) lgkmcnt(0)
	v_cvt_u32_f32_e32 v4, v4
	v_cmp_gt_u32_e64 s[4:5], v8, v4
	v_addc_co_u32_e64 v2, s[4:5], 0, v2, s[4:5]
	v_cmp_lt_u32_e64 s[4:5], v8, v4
	v_addc_co_u32_e64 v3, s[4:5], 0, v3, s[4:5]
	s_andn2_b64 exec, exec, s[8:9]
	s_cbranch_execnz .LBB5_21
; %bb.22:                               ;   in Loop: Header=BB5_15 Depth=1
	s_or_b64 exec, exec, s[8:9]
.LBB5_23:                               ;   in Loop: Header=BB5_15 Depth=1
	s_or_b64 exec, exec, s[6:7]
	ds_write_b32 v52, v2
	ds_write_b32 v51, v3
	s_waitcnt lgkmcnt(0)
	s_barrier
	s_and_saveexec_b64 s[4:5], s[20:21]
	s_cbranch_execz .LBB5_25
; %bb.24:                               ;   in Loop: Header=BB5_15 Depth=1
	buffer_load_dword v0, off, s[0:3], 0 offset:8 ; 4-byte Folded Reload
	buffer_load_dword v2, off, s[0:3], 0 offset:12 ; 4-byte Folded Reload
	s_waitcnt vmcnt(1)
	ds_read2_b32 v[0:1], v0 offset1:1
	s_waitcnt vmcnt(0)
	ds_read2_b32 v[2:3], v2 offset1:1
	s_waitcnt lgkmcnt(1)
	v_add_u32_e32 v0, v1, v0
	s_waitcnt lgkmcnt(0)
	v_add_u32_e32 v1, v3, v2
	ds_write_b32 v52, v0
	ds_write_b32 v51, v1
.LBB5_25:                               ;   in Loop: Header=BB5_15 Depth=1
	s_or_b64 exec, exec, s[4:5]
	s_waitcnt lgkmcnt(0)
	s_barrier
	s_and_saveexec_b64 s[4:5], s[22:23]
	s_cbranch_execz .LBB5_27
; %bb.26:                               ;   in Loop: Header=BB5_15 Depth=1
	buffer_load_dword v0, off, s[0:3], 0 offset:16 ; 4-byte Folded Reload
	buffer_load_dword v1, off, s[0:3], 0 offset:20 ; 4-byte Folded Reload
	s_waitcnt vmcnt(1)
	ds_read_b32 v0, v0
	s_waitcnt vmcnt(0)
	ds_read_b32 v1, v1
	ds_read_b32 v2, v52
	;; [unrolled: 1-line block ×3, first 2 shown]
	s_waitcnt lgkmcnt(1)
	v_add_u32_e32 v0, v2, v0
	s_waitcnt lgkmcnt(0)
	v_add_u32_e32 v1, v3, v1
	ds_write_b32 v52, v0
	ds_write_b32 v51, v1
.LBB5_27:                               ;   in Loop: Header=BB5_15 Depth=1
	s_or_b64 exec, exec, s[4:5]
	s_waitcnt lgkmcnt(0)
	s_barrier
	s_and_saveexec_b64 s[4:5], s[24:25]
	s_cbranch_execz .LBB5_29
; %bb.28:                               ;   in Loop: Header=BB5_15 Depth=1
	ds_read_b32 v0, v57
	ds_read_b32 v1, v58
	ds_read_b32 v2, v52
	ds_read_b32 v3, v51
	s_waitcnt lgkmcnt(1)
	v_add_u32_e32 v0, v2, v0
	s_waitcnt lgkmcnt(0)
	v_add_u32_e32 v1, v3, v1
	ds_write_b32 v52, v0
	ds_write_b32 v51, v1
.LBB5_29:                               ;   in Loop: Header=BB5_15 Depth=1
	s_or_b64 exec, exec, s[4:5]
	s_waitcnt lgkmcnt(0)
	s_barrier
	s_and_saveexec_b64 s[4:5], s[26:27]
	s_cbranch_execz .LBB5_31
; %bb.30:                               ;   in Loop: Header=BB5_15 Depth=1
	ds_read_b32 v0, v59
	ds_read_b32 v1, v60
	ds_read_b32 v2, v52
	ds_read_b32 v3, v51
	s_waitcnt lgkmcnt(1)
	v_add_u32_e32 v0, v2, v0
	s_waitcnt lgkmcnt(0)
	v_add_u32_e32 v1, v3, v1
	ds_write_b32 v52, v0
	ds_write_b32 v51, v1
.LBB5_31:                               ;   in Loop: Header=BB5_15 Depth=1
	;; [unrolled: 17-line block ×5, first 2 shown]
	s_or_b64 exec, exec, s[4:5]
	s_waitcnt lgkmcnt(0)
	s_barrier
	s_and_saveexec_b64 s[4:5], s[36:37]
	s_cbranch_execz .LBB5_39
; %bb.38:                               ;   in Loop: Header=BB5_15 Depth=1
	ds_read_b32 v0, v52
	ds_read_b32 v1, v51
	s_waitcnt lgkmcnt(1)
	ds_write_b32 v47, v0 offset:15976
	s_waitcnt lgkmcnt(1)
	ds_write_b64 v47, v[0:1] offset:15888
	ds_write_b32 v47, v1 offset:15360
	ds_write_b32 v52, v47
	ds_write_b32 v51, v47
.LBB5_39:                               ;   in Loop: Header=BB5_15 Depth=1
	s_or_b64 exec, exec, s[4:5]
	s_and_saveexec_b64 s[4:5], s[36:37]
	s_cbranch_execz .LBB5_41
; %bb.40:                               ;   in Loop: Header=BB5_15 Depth=1
	ds_read_b32 v0, v53
	ds_read_b32 v1, v52
	ds_read_b32 v2, v44
	ds_read_b32 v3, v51
	s_waitcnt lgkmcnt(2)
	ds_write_b32 v44, v1
	s_waitcnt lgkmcnt(2)
	v_add_u32_e32 v1, v1, v2
	s_waitcnt lgkmcnt(1)
	v_add_u32_e32 v0, v3, v0
	ds_write_b32 v52, v1
	ds_write_b32 v53, v3
	ds_write_b32 v51, v0
.LBB5_41:                               ;   in Loop: Header=BB5_15 Depth=1
	s_or_b64 exec, exec, s[4:5]
	s_waitcnt lgkmcnt(0)
	s_barrier
	s_and_saveexec_b64 s[4:5], s[34:35]
	s_cbranch_execz .LBB5_43
; %bb.42:                               ;   in Loop: Header=BB5_15 Depth=1
	ds_read_b32 v0, v43
	ds_read_b32 v1, v52
	ds_read_b32 v2, v63
	ds_read_b32 v3, v51
	s_waitcnt lgkmcnt(2)
	ds_write_b32 v63, v1
	s_waitcnt lgkmcnt(2)
	v_add_u32_e32 v1, v1, v2
	s_waitcnt lgkmcnt(1)
	v_add_u32_e32 v0, v3, v0
	ds_write_b32 v52, v1
	ds_write_b32 v43, v3
	ds_write_b32 v51, v0
.LBB5_43:                               ;   in Loop: Header=BB5_15 Depth=1
	s_or_b64 exec, exec, s[4:5]
	s_waitcnt lgkmcnt(0)
	s_barrier
	;; [unrolled: 20-line block ×5, first 2 shown]
	s_and_saveexec_b64 s[4:5], s[22:23]
	s_cbranch_execz .LBB5_51
; %bb.50:                               ;   in Loop: Header=BB5_15 Depth=1
	buffer_load_dword v5, off, s[0:3], 0 offset:20 ; 4-byte Folded Reload
	s_waitcnt vmcnt(0)
	ds_read_b32 v0, v5
	ds_read_b32 v1, v52
	buffer_load_dword v4, off, s[0:3], 0 offset:16 ; 4-byte Folded Reload
	s_waitcnt vmcnt(0)
	ds_read_b32 v2, v4
	ds_read_b32 v3, v51
	s_waitcnt lgkmcnt(2)
	ds_write_b32 v4, v1
	s_waitcnt lgkmcnt(2)
	v_add_u32_e32 v1, v1, v2
	s_waitcnt lgkmcnt(1)
	v_add_u32_e32 v0, v3, v0
	ds_write_b32 v52, v1
	ds_write_b32 v5, v3
	ds_write_b32 v51, v0
.LBB5_51:                               ;   in Loop: Header=BB5_15 Depth=1
	s_or_b64 exec, exec, s[4:5]
	s_waitcnt lgkmcnt(0)
	s_barrier
	s_and_saveexec_b64 s[4:5], s[20:21]
	s_cbranch_execz .LBB5_53
; %bb.52:                               ;   in Loop: Header=BB5_15 Depth=1
	buffer_load_dword v4, off, s[0:3], 0 offset:8 ; 4-byte Folded Reload
	buffer_load_dword v5, off, s[0:3], 0 offset:12 ; 4-byte Folded Reload
	s_waitcnt vmcnt(1)
	ds_read2_b32 v[0:1], v4 offset1:1
	s_waitcnt vmcnt(0)
	ds_read2_b32 v[2:3], v5 offset1:1
	s_waitcnt lgkmcnt(1)
	v_add_u32_e32 v0, v1, v0
	s_waitcnt lgkmcnt(0)
	v_add_u32_e32 v2, v3, v2
	ds_write2_b32 v4, v1, v0 offset1:1
	ds_write2_b32 v5, v3, v2 offset1:1
.LBB5_53:                               ;   in Loop: Header=BB5_15 Depth=1
	s_or_b64 exec, exec, s[4:5]
	s_waitcnt lgkmcnt(0)
	s_barrier
	s_and_saveexec_b64 s[4:5], vcc
	s_cbranch_execz .LBB5_60
; %bb.54:                               ;   in Loop: Header=BB5_15 Depth=1
	ds_read_b32 v4, v51 offset:4
	ds_read_b32 v5, v52
	ds_read2_b64 v[0:3], v55 offset0:129 offset1:195
	s_mov_b64 s[6:7], 0
	v_mov_b32_e32 v46, v9
	s_waitcnt lgkmcnt(2)
	v_sub_u32_e32 v4, v41, v4
	s_waitcnt lgkmcnt(1)
	v_add_u32_e32 v6, v5, v40
	s_branch .LBB5_56
.LBB5_55:                               ;   in Loop: Header=BB5_56 Depth=2
	s_or_b64 exec, exec, s[8:9]
	v_add_u32_e32 v46, 0x80, v46
	v_cmp_ge_u32_e32 vcc, v46, v41
	s_or_b64 s[6:7], vcc, s[6:7]
	s_andn2_b64 exec, exec, s[6:7]
	s_cbranch_execz .LBB5_60
.LBB5_56:                               ;   Parent Loop BB5_15 Depth=1
                                        ; =>  This Inner Loop Header: Depth=2
	v_lshlrev_b64 v[10:11], 2, v[46:47]
	s_waitcnt lgkmcnt(0)
	v_add_co_u32_e32 v10, vcc, v0, v10
	v_addc_co_u32_e32 v11, vcc, v1, v11, vcc
	flat_load_dword v5, v[10:11]
	s_waitcnt vmcnt(0) lgkmcnt(0)
	v_cvt_u32_f32_e32 v5, v5
	v_cvt_f32_u32_e32 v10, v5
	v_cmp_gt_u32_e32 vcc, v8, v5
	s_and_saveexec_b64 s[8:9], vcc
	s_cbranch_execz .LBB5_58
; %bb.57:                               ;   in Loop: Header=BB5_56 Depth=2
	v_mov_b32_e32 v7, v47
	v_add_u32_e32 v11, 1, v6
	v_lshlrev_b64 v[6:7], 2, v[6:7]
	v_add_co_u32_e32 v6, vcc, v2, v6
	v_addc_co_u32_e32 v7, vcc, v3, v7, vcc
	flat_store_dword v[6:7], v10
	v_mov_b32_e32 v6, v11
.LBB5_58:                               ;   in Loop: Header=BB5_56 Depth=2
	s_or_b64 exec, exec, s[8:9]
	v_cmp_lt_u32_e32 vcc, v8, v5
	s_and_saveexec_b64 s[8:9], vcc
	s_cbranch_execz .LBB5_55
; %bb.59:                               ;   in Loop: Header=BB5_56 Depth=2
	v_mov_b32_e32 v5, v47
	v_add_u32_e32 v7, 1, v4
	v_lshlrev_b64 v[4:5], 2, v[4:5]
	v_add_co_u32_e32 v4, vcc, v2, v4
	v_addc_co_u32_e32 v5, vcc, v3, v5, vcc
	flat_store_dword v[4:5], v10
	v_mov_b32_e32 v4, v7
	s_branch .LBB5_55
.LBB5_60:                               ;   in Loop: Header=BB5_15 Depth=1
	s_or_b64 exec, exec, s[4:5]
	s_waitcnt vmcnt(0) lgkmcnt(0)
	s_barrier
	ds_read2_b32 v[1:2], v54 offset0:133 offset1:154
	s_waitcnt lgkmcnt(0)
	v_add_u32_e32 v0, v9, v2
	v_sub_u32_e32 v1, v41, v1
	v_cmp_lt_u32_e32 vcc, v0, v1
	s_and_saveexec_b64 s[4:5], vcc
	s_cbranch_execz .LBB5_63
; %bb.61:                               ;   in Loop: Header=BB5_15 Depth=1
	v_cvt_f32_u32_e32 v2, v8
	s_mov_b64 s[6:7], 0
.LBB5_62:                               ;   Parent Loop BB5_15 Depth=1
                                        ; =>  This Inner Loop Header: Depth=2
	v_add_u32_e32 v46, v45, v0
	v_add_u32_e32 v0, 0x80, v0
	v_lshlrev_b64 v[3:4], 2, v[46:47]
	v_cmp_ge_u32_e32 vcc, v0, v1
	v_mov_b32_e32 v5, s41
	s_or_b64 s[6:7], vcc, s[6:7]
	v_add_co_u32_e32 v3, vcc, s40, v3
	v_addc_co_u32_e32 v4, vcc, v5, v4, vcc
	global_store_dword v[3:4], v2, off
	s_andn2_b64 exec, exec, s[6:7]
	s_cbranch_execnz .LBB5_62
.LBB5_63:                               ;   in Loop: Header=BB5_15 Depth=1
	s_or_b64 exec, exec, s[4:5]
	s_waitcnt vmcnt(0)
	s_barrier
	ds_read_b32 v2, v47 offset:15976
	s_mov_b64 s[4:5], -1
	s_waitcnt lgkmcnt(0)
	v_cmp_lt_u32_e32 vcc, s15, v2
	s_cbranch_vccz .LBB5_67
; %bb.64:                               ;   in Loop: Header=BB5_15 Depth=1
	s_and_saveexec_b64 s[4:5], s[18:19]
	s_cbranch_execz .LBB5_66
; %bb.65:                               ;   in Loop: Header=BB5_15 Depth=1
	ds_read_b32 v0, v47 offset:15364
	v_add_u32_e32 v1, v2, v40
	v_xor_b32_e32 v4, 1, v56
	s_waitcnt lgkmcnt(0)
	v_mul_lo_u32 v3, v0, 12
	v_add_u32_e32 v0, 1, v0
	ds_write_b32 v47, v0 offset:15364
	v_add_u32_e32 v0, 0x3e2c, v3
	ds_write2_b32 v0, v40, v1 offset1:1
	ds_write_b32 v3, v4 offset:15924
.LBB5_66:                               ;   in Loop: Header=BB5_15 Depth=1
	s_or_b64 exec, exec, s[4:5]
	s_mov_b64 s[4:5], 0
	s_waitcnt lgkmcnt(0)
	s_barrier
.LBB5_67:                               ;   in Loop: Header=BB5_15 Depth=1
	s_and_b64 vcc, exec, s[4:5]
	s_cbranch_vccz .LBB5_69
; %bb.68:                               ;   in Loop: Header=BB5_15 Depth=1
	ds_read_b64 v[0:1], v47 offset:15896
	v_add_u32_e32 v5, v2, v40
	buffer_load_dword v2, off, s[0:3], 0    ; 4-byte Folded Reload
	buffer_load_dword v3, off, s[0:3], 0 offset:4 ; 4-byte Folded Reload
	s_add_u32 s8, s16, 24
	s_addc_u32 s9, s17, 0
	s_getpc_b64 s[4:5]
	s_add_u32 s4, s4, _Z14sort_thresholdIfEvPT_S1_jjS1_j@rel32@lo+4
	s_addc_u32 s5, s5, _Z14sort_thresholdIfEvPT_S1_jjS1_j@rel32@hi+12
	v_mov_b32_e32 v4, v40
	v_mov_b32_e32 v6, v42
	s_swappc_b64 s[30:31], s[4:5]
.LBB5_69:                               ;   in Loop: Header=BB5_15 Depth=1
	ds_read_b32 v2, v47 offset:15892
	s_mov_b64 s[4:5], -1
	s_waitcnt lgkmcnt(0)
	v_cmp_lt_u32_e32 vcc, s15, v2
	s_cbranch_vccnz .LBB5_71
; %bb.70:                               ;   in Loop: Header=BB5_15 Depth=1
	s_and_b64 vcc, exec, s[4:5]
	s_cbranch_vccz .LBB5_14
	s_branch .LBB5_74
.LBB5_71:                               ;   in Loop: Header=BB5_15 Depth=1
	s_and_saveexec_b64 s[4:5], s[18:19]
	s_cbranch_execz .LBB5_73
; %bb.72:                               ;   in Loop: Header=BB5_15 Depth=1
	ds_read_b32 v0, v47 offset:15364
	v_sub_u32_e32 v1, v41, v2
	v_xor_b32_e32 v4, 1, v56
	s_waitcnt lgkmcnt(0)
	v_mul_lo_u32 v3, v0, 12
	v_add_u32_e32 v0, 1, v0
	ds_write_b32 v47, v0 offset:15364
	v_add_u32_e32 v0, 0x3e2c, v3
	ds_write2_b32 v0, v1, v41 offset1:1
	ds_write_b32 v3, v4 offset:15924
.LBB5_73:                               ;   in Loop: Header=BB5_15 Depth=1
	s_or_b64 exec, exec, s[4:5]
	s_waitcnt lgkmcnt(0)
	s_barrier
	s_branch .LBB5_14
.LBB5_74:                               ;   in Loop: Header=BB5_15 Depth=1
	ds_read_b64 v[0:1], v47 offset:15896
	v_sub_u32_e32 v4, v41, v2
	buffer_load_dword v2, off, s[0:3], 0    ; 4-byte Folded Reload
	buffer_load_dword v3, off, s[0:3], 0 offset:4 ; 4-byte Folded Reload
	s_add_u32 s8, s16, 24
	s_addc_u32 s9, s17, 0
	s_getpc_b64 s[4:5]
	s_add_u32 s4, s4, _Z14sort_thresholdIfEvPT_S1_jjS1_j@rel32@lo+4
	s_addc_u32 s5, s5, _Z14sort_thresholdIfEvPT_S1_jjS1_j@rel32@hi+12
	v_mov_b32_e32 v5, v41
	v_mov_b32_e32 v6, v42
	s_swappc_b64 s[30:31], s[4:5]
	s_branch .LBB5_14
.LBB5_75:
	s_endpgm
	.section	.rodata,"a",@progbits
	.p2align	6, 0x0
	.amdhsa_kernel _Z13lqsort_kernelIfEvPT_S1_P11work_recordIS0_E
		.amdhsa_group_segment_fixed_size 15984
		.amdhsa_private_segment_fixed_size 32
		.amdhsa_kernarg_size 280
		.amdhsa_user_sgpr_count 6
		.amdhsa_user_sgpr_private_segment_buffer 1
		.amdhsa_user_sgpr_dispatch_ptr 0
		.amdhsa_user_sgpr_queue_ptr 0
		.amdhsa_user_sgpr_kernarg_segment_ptr 1
		.amdhsa_user_sgpr_dispatch_id 0
		.amdhsa_user_sgpr_flat_scratch_init 0
		.amdhsa_user_sgpr_private_segment_size 0
		.amdhsa_uses_dynamic_stack 0
		.amdhsa_system_sgpr_private_segment_wavefront_offset 1
		.amdhsa_system_sgpr_workgroup_id_x 1
		.amdhsa_system_sgpr_workgroup_id_y 0
		.amdhsa_system_sgpr_workgroup_id_z 0
		.amdhsa_system_sgpr_workgroup_info 0
		.amdhsa_system_vgpr_workitem_id 0
		.amdhsa_next_free_vgpr 64
		.amdhsa_next_free_sgpr 61
		.amdhsa_reserve_vcc 1
		.amdhsa_reserve_flat_scratch 0
		.amdhsa_float_round_mode_32 0
		.amdhsa_float_round_mode_16_64 0
		.amdhsa_float_denorm_mode_32 3
		.amdhsa_float_denorm_mode_16_64 3
		.amdhsa_dx10_clamp 1
		.amdhsa_ieee_mode 1
		.amdhsa_fp16_overflow 0
		.amdhsa_exception_fp_ieee_invalid_op 0
		.amdhsa_exception_fp_denorm_src 0
		.amdhsa_exception_fp_ieee_div_zero 0
		.amdhsa_exception_fp_ieee_overflow 0
		.amdhsa_exception_fp_ieee_underflow 0
		.amdhsa_exception_fp_ieee_inexact 0
		.amdhsa_exception_int_div_zero 0
	.end_amdhsa_kernel
	.section	.text._Z13lqsort_kernelIfEvPT_S1_P11work_recordIS0_E,"axG",@progbits,_Z13lqsort_kernelIfEvPT_S1_P11work_recordIS0_E,comdat
.Lfunc_end5:
	.size	_Z13lqsort_kernelIfEvPT_S1_P11work_recordIS0_E, .Lfunc_end5-_Z13lqsort_kernelIfEvPT_S1_P11work_recordIS0_E
                                        ; -- End function
	.set _Z13lqsort_kernelIfEvPT_S1_P11work_recordIS0_E.num_vgpr, max(64, .L_Z14sort_thresholdIfEvPT_S1_jjS1_j.num_vgpr)
	.set _Z13lqsort_kernelIfEvPT_S1_P11work_recordIS0_E.num_agpr, max(0, .L_Z14sort_thresholdIfEvPT_S1_jjS1_j.num_agpr)
	.set _Z13lqsort_kernelIfEvPT_S1_P11work_recordIS0_E.numbered_sgpr, max(44, .L_Z14sort_thresholdIfEvPT_S1_jjS1_j.numbered_sgpr)
	.set _Z13lqsort_kernelIfEvPT_S1_P11work_recordIS0_E.num_named_barrier, max(0, .L_Z14sort_thresholdIfEvPT_S1_jjS1_j.num_named_barrier)
	.set _Z13lqsort_kernelIfEvPT_S1_P11work_recordIS0_E.private_seg_size, 32+max(.L_Z14sort_thresholdIfEvPT_S1_jjS1_j.private_seg_size)
	.set _Z13lqsort_kernelIfEvPT_S1_P11work_recordIS0_E.uses_vcc, or(1, .L_Z14sort_thresholdIfEvPT_S1_jjS1_j.uses_vcc)
	.set _Z13lqsort_kernelIfEvPT_S1_P11work_recordIS0_E.uses_flat_scratch, or(0, .L_Z14sort_thresholdIfEvPT_S1_jjS1_j.uses_flat_scratch)
	.set _Z13lqsort_kernelIfEvPT_S1_P11work_recordIS0_E.has_dyn_sized_stack, or(0, .L_Z14sort_thresholdIfEvPT_S1_jjS1_j.has_dyn_sized_stack)
	.set _Z13lqsort_kernelIfEvPT_S1_P11work_recordIS0_E.has_recursion, or(0, .L_Z14sort_thresholdIfEvPT_S1_jjS1_j.has_recursion)
	.set _Z13lqsort_kernelIfEvPT_S1_P11work_recordIS0_E.has_indirect_call, or(0, .L_Z14sort_thresholdIfEvPT_S1_jjS1_j.has_indirect_call)
	.section	.AMDGPU.csdata,"",@progbits
; Kernel info:
; codeLenInByte = 3396
; TotalNumSgprs: 48
; NumVgprs: 64
; ScratchSize: 32
; MemoryBound: 0
; FloatMode: 240
; IeeeMode: 1
; LDSByteSize: 15984 bytes/workgroup (compile time only)
; SGPRBlocks: 8
; VGPRBlocks: 15
; NumSGPRsForWavesPerEU: 65
; NumVGPRsForWavesPerEU: 64
; Occupancy: 4
; WaveLimiterHint : 1
; COMPUTE_PGM_RSRC2:SCRATCH_EN: 1
; COMPUTE_PGM_RSRC2:USER_SGPR: 6
; COMPUTE_PGM_RSRC2:TRAP_HANDLER: 0
; COMPUTE_PGM_RSRC2:TGID_X_EN: 1
; COMPUTE_PGM_RSRC2:TGID_Y_EN: 0
; COMPUTE_PGM_RSRC2:TGID_Z_EN: 0
; COMPUTE_PGM_RSRC2:TIDIG_COMP_CNT: 0
	.section	.text._Z13gqsort_kernelIdEvPT_S1_P12block_recordIS0_EP13parent_recordP11work_recordIS0_E,"axG",@progbits,_Z13gqsort_kernelIdEvPT_S1_P12block_recordIS0_EP13parent_recordP11work_recordIS0_E,comdat
	.protected	_Z13gqsort_kernelIdEvPT_S1_P12block_recordIS0_EP13parent_recordP11work_recordIS0_E ; -- Begin function _Z13gqsort_kernelIdEvPT_S1_P12block_recordIS0_EP13parent_recordP11work_recordIS0_E
	.globl	_Z13gqsort_kernelIdEvPT_S1_P12block_recordIS0_EP13parent_recordP11work_recordIS0_E
	.p2align	8
	.type	_Z13gqsort_kernelIdEvPT_S1_P12block_recordIS0_EP13parent_recordP11work_recordIS0_E,@function
_Z13gqsort_kernelIdEvPT_S1_P12block_recordIS0_EP13parent_recordP11work_recordIS0_E: ; @_Z13gqsort_kernelIdEvPT_S1_P12block_recordIS0_EP13parent_recordP11work_recordIS0_E
; %bb.0:
	s_load_dwordx8 s[16:23], s[4:5], 0x0
	s_mul_i32 s0, s6, 24
	s_mul_hi_u32 s1, s6, 24
	v_lshlrev_b32_e32 v4, 2, v0
	v_mov_b32_e32 v5, 0
	s_waitcnt lgkmcnt(0)
	s_add_u32 s0, s20, s0
	s_addc_u32 s1, s21, s1
	s_load_dwordx2 s[20:21], s[0:1], 0x10
	s_load_dwordx4 s[24:27], s[0:1], 0x0
	s_load_dwordx2 s[28:29], s[4:5], 0x20
	v_mov_b32_e32 v6, 0
	ds_write2_b32 v4, v5, v5 offset1:132
	s_waitcnt lgkmcnt(0)
	s_cmp_eq_u32 s20, 1
	s_cselect_b64 s[30:31], -1, 0
	s_and_b64 s[0:1], s[30:31], exec
	v_add_u32_e32 v1, s24, v0
	s_cselect_b32 s33, s17, s19
	s_cselect_b32 s7, s16, s18
	v_cmp_gt_u32_e32 vcc, s25, v1
	s_barrier
	s_and_saveexec_b64 s[2:3], vcc
	s_cbranch_execz .LBB6_4
; %bb.1:
	v_mov_b32_e32 v3, 0
	s_mov_b64 s[4:5], 0
	v_mov_b32_e32 v7, s33
	v_mov_b32_e32 v2, v1
	;; [unrolled: 1-line block ×4, first 2 shown]
.LBB6_2:                                ; =>This Inner Loop Header: Depth=1
	v_lshlrev_b64 v[8:9], 3, v[2:3]
	v_add_u32_e32 v2, 0x80, v2
	v_add_co_u32_e64 v8, s[0:1], s7, v8
	v_addc_co_u32_e64 v9, s[0:1], v7, v9, s[0:1]
	global_load_dwordx2 v[8:9], v[8:9], off
	v_cmp_le_u32_e64 s[0:1], s25, v2
	s_or_b64 s[4:5], s[0:1], s[4:5]
	s_waitcnt vmcnt(0)
	v_cvt_u32_f64_e32 v8, v[8:9]
	v_cvt_f64_u32_e32 v[8:9], v8
	v_cmp_gt_f64_e64 s[0:1], s[26:27], v[8:9]
	v_addc_co_u32_e64 v5, s[0:1], 0, v5, s[0:1]
	v_cmp_lt_f64_e64 s[0:1], s[26:27], v[8:9]
	v_addc_co_u32_e64 v6, s[0:1], 0, v6, s[0:1]
	s_andn2_b64 exec, exec, s[4:5]
	s_cbranch_execnz .LBB6_2
; %bb.3:
	s_or_b64 exec, exec, s[4:5]
.LBB6_4:
	s_or_b64 exec, exec, s[2:3]
	v_add_u32_e32 v3, 0x210, v4
	v_and_b32_e32 v2, 1, v0
	ds_write_b32 v3, v5
	ds_write_b32 v4, v6
	v_cmp_eq_u32_e64 s[0:1], 1, v2
	v_add_u32_e32 v2, -4, v3
	v_add_u32_e32 v5, -4, v4
	s_waitcnt lgkmcnt(0)
	s_barrier
	s_and_saveexec_b64 s[2:3], s[0:1]
	s_cbranch_execz .LBB6_6
; %bb.5:
	ds_read2_b32 v[6:7], v2 offset1:1
	ds_read2_b32 v[8:9], v5 offset1:1
	s_waitcnt lgkmcnt(1)
	v_add_u32_e32 v6, v7, v6
	s_waitcnt lgkmcnt(0)
	v_add_u32_e32 v7, v9, v8
	ds_write_b32 v3, v6
	ds_write_b32 v4, v7
.LBB6_6:
	s_or_b64 exec, exec, s[2:3]
	v_and_b32_e32 v6, 3, v0
	v_cmp_eq_u32_e64 s[2:3], 3, v6
	v_add_u32_e32 v7, -8, v3
	v_add_u32_e32 v6, -8, v4
	s_waitcnt lgkmcnt(0)
	s_barrier
	s_and_saveexec_b64 s[4:5], s[2:3]
	s_cbranch_execz .LBB6_8
; %bb.7:
	ds_read_b32 v8, v7
	ds_read_b32 v9, v6
	;; [unrolled: 1-line block ×4, first 2 shown]
	s_waitcnt lgkmcnt(1)
	v_add_u32_e32 v8, v10, v8
	s_waitcnt lgkmcnt(0)
	v_add_u32_e32 v9, v11, v9
	ds_write_b32 v3, v8
	ds_write_b32 v4, v9
.LBB6_8:
	s_or_b64 exec, exec, s[4:5]
	v_and_b32_e32 v8, 7, v0
	v_cmp_eq_u32_e64 s[4:5], 7, v8
	v_add_u32_e32 v9, -16, v3
	v_add_u32_e32 v8, -16, v4
	s_waitcnt lgkmcnt(0)
	s_barrier
	s_and_saveexec_b64 s[8:9], s[4:5]
	s_cbranch_execz .LBB6_10
; %bb.9:
	ds_read_b32 v10, v9
	ds_read_b32 v11, v8
	;; [unrolled: 1-line block ×4, first 2 shown]
	s_waitcnt lgkmcnt(1)
	v_add_u32_e32 v10, v12, v10
	s_waitcnt lgkmcnt(0)
	v_add_u32_e32 v11, v13, v11
	ds_write_b32 v3, v10
	ds_write_b32 v4, v11
.LBB6_10:
	s_or_b64 exec, exec, s[8:9]
	v_and_b32_e32 v10, 15, v0
	v_cmp_eq_u32_e64 s[14:15], 15, v10
	v_subrev_u32_e32 v11, 32, v3
	v_subrev_u32_e32 v10, 32, v4
	s_waitcnt lgkmcnt(0)
	s_barrier
	s_and_saveexec_b64 s[8:9], s[14:15]
	s_cbranch_execz .LBB6_12
; %bb.11:
	ds_read_b32 v12, v11
	ds_read_b32 v13, v10
	;; [unrolled: 1-line block ×4, first 2 shown]
	s_waitcnt lgkmcnt(1)
	v_add_u32_e32 v12, v14, v12
	s_waitcnt lgkmcnt(0)
	v_add_u32_e32 v13, v15, v13
	ds_write_b32 v3, v12
	ds_write_b32 v4, v13
.LBB6_12:
	s_or_b64 exec, exec, s[8:9]
	v_and_b32_e32 v12, 31, v0
	v_cmp_eq_u32_e64 s[8:9], 31, v12
	v_subrev_u32_e32 v13, 64, v3
	v_subrev_u32_e32 v12, 64, v4
	s_waitcnt lgkmcnt(0)
	s_barrier
	s_and_saveexec_b64 s[10:11], s[8:9]
	s_cbranch_execz .LBB6_14
; %bb.13:
	ds_read_b32 v14, v13
	ds_read_b32 v15, v12
	;; [unrolled: 1-line block ×4, first 2 shown]
	s_waitcnt lgkmcnt(1)
	v_add_u32_e32 v14, v16, v14
	s_waitcnt lgkmcnt(0)
	v_add_u32_e32 v15, v17, v15
	ds_write_b32 v3, v14
	ds_write_b32 v4, v15
.LBB6_14:
	s_or_b64 exec, exec, s[10:11]
	v_and_b32_e32 v14, 63, v0
	v_cmp_eq_u32_e64 s[10:11], 63, v14
	s_waitcnt lgkmcnt(0)
	s_barrier
	s_and_saveexec_b64 s[12:13], s[10:11]
	s_cbranch_execz .LBB6_16
; %bb.15:
	v_add_u32_e32 v14, 0xffffff80, v3
	v_add_u32_e32 v15, 0xffffff80, v4
	ds_read_b32 v14, v14
	ds_read_b32 v15, v15
	;; [unrolled: 1-line block ×4, first 2 shown]
	s_waitcnt lgkmcnt(1)
	v_add_u32_e32 v14, v16, v14
	ds_write_b32 v3, v14
	s_waitcnt lgkmcnt(1)
	v_add_u32_e32 v14, v17, v15
	ds_write_b32 v4, v14
.LBB6_16:
	s_or_b64 exec, exec, s[12:13]
	s_movk_i32 s12, 0x7f
	v_and_b32_e32 v14, 0x7f, v0
	v_cmp_eq_u32_e64 s[12:13], s12, v14
	s_waitcnt lgkmcnt(0)
	s_barrier
	s_and_saveexec_b64 s[34:35], s[12:13]
	s_cbranch_execz .LBB6_18
; %bb.17:
	v_add_u32_e32 v14, 0xffffff00, v3
	v_add_u32_e32 v15, 0xffffff00, v4
	ds_read_b32 v14, v14
	ds_read_b32 v15, v15
	;; [unrolled: 1-line block ×4, first 2 shown]
	s_waitcnt lgkmcnt(1)
	v_add_u32_e32 v14, v16, v14
	ds_write_b32 v3, v14
	s_waitcnt lgkmcnt(1)
	v_add_u32_e32 v14, v17, v15
	ds_write_b32 v4, v14
.LBB6_18:
	s_or_b64 exec, exec, s[34:35]
	s_waitcnt lgkmcnt(0)
	s_barrier
	s_and_saveexec_b64 s[34:35], s[12:13]
	s_cbranch_execz .LBB6_20
; %bb.19:
	ds_read_b32 v14, v3
	ds_read_b32 v16, v4
	v_mov_b32_e32 v17, 0
	s_waitcnt lgkmcnt(1)
	v_mov_b32_e32 v15, v14
	s_waitcnt lgkmcnt(0)
	ds_write2_b32 v17, v16, v16 offset0:128 offset1:131
	ds_write_b64 v17, v[14:15] offset:1040
	ds_write_b32 v3, v17
	ds_write_b32 v4, v17
.LBB6_20:
	s_or_b64 exec, exec, s[34:35]
	s_and_saveexec_b64 s[34:35], s[12:13]
	s_cbranch_execz .LBB6_22
; %bb.21:
	v_add_u32_e32 v15, 0xffffff00, v4
	v_add_u32_e32 v14, 0xffffff00, v3
	ds_read_b32 v16, v15
	ds_read_b32 v17, v3
	;; [unrolled: 1-line block ×4, first 2 shown]
	s_waitcnt lgkmcnt(2)
	ds_write_b32 v14, v17
	s_waitcnt lgkmcnt(2)
	v_add_u32_e32 v14, v17, v18
	ds_write_b32 v3, v14
	s_waitcnt lgkmcnt(2)
	ds_write_b32 v15, v19
	v_add_u32_e32 v14, v19, v16
	ds_write_b32 v4, v14
.LBB6_22:
	s_or_b64 exec, exec, s[34:35]
	s_waitcnt lgkmcnt(0)
	s_barrier
	s_and_saveexec_b64 s[12:13], s[10:11]
	s_cbranch_execz .LBB6_24
; %bb.23:
	v_add_u32_e32 v15, 0xffffff80, v4
	v_add_u32_e32 v14, 0xffffff80, v3
	ds_read_b32 v16, v15
	ds_read_b32 v17, v3
	;; [unrolled: 1-line block ×4, first 2 shown]
	s_waitcnt lgkmcnt(2)
	ds_write_b32 v14, v17
	s_waitcnt lgkmcnt(2)
	v_add_u32_e32 v14, v17, v18
	ds_write_b32 v3, v14
	s_waitcnt lgkmcnt(2)
	ds_write_b32 v15, v19
	v_add_u32_e32 v14, v19, v16
	ds_write_b32 v4, v14
.LBB6_24:
	s_or_b64 exec, exec, s[12:13]
	s_waitcnt lgkmcnt(0)
	s_barrier
	s_and_saveexec_b64 s[10:11], s[8:9]
	s_cbranch_execz .LBB6_26
; %bb.25:
	ds_read_b32 v14, v12
	ds_read_b32 v15, v3
	ds_read_b32 v16, v13
	ds_read_b32 v17, v4
	s_waitcnt lgkmcnt(2)
	ds_write_b32 v13, v15
	s_waitcnt lgkmcnt(2)
	v_add_u32_e32 v13, v15, v16
	ds_write_b32 v3, v13
	s_waitcnt lgkmcnt(2)
	ds_write_b32 v12, v17
	v_add_u32_e32 v12, v17, v14
	ds_write_b32 v4, v12
.LBB6_26:
	s_or_b64 exec, exec, s[10:11]
	s_waitcnt lgkmcnt(0)
	s_barrier
	s_and_saveexec_b64 s[8:9], s[14:15]
	s_cbranch_execz .LBB6_28
; %bb.27:
	ds_read_b32 v12, v10
	ds_read_b32 v13, v3
	ds_read_b32 v14, v11
	ds_read_b32 v15, v4
	s_waitcnt lgkmcnt(2)
	ds_write_b32 v11, v13
	s_waitcnt lgkmcnt(2)
	v_add_u32_e32 v11, v13, v14
	ds_write_b32 v3, v11
	s_waitcnt lgkmcnt(2)
	ds_write_b32 v10, v15
	v_add_u32_e32 v10, v15, v12
	ds_write_b32 v4, v10
.LBB6_28:
	;; [unrolled: 20-line block ×4, first 2 shown]
	s_or_b64 exec, exec, s[4:5]
	s_waitcnt lgkmcnt(0)
	s_barrier
	s_and_saveexec_b64 s[2:3], s[0:1]
	s_cbranch_execz .LBB6_34
; %bb.33:
	ds_read2_b32 v[6:7], v2 offset1:1
	ds_read2_b32 v[8:9], v5 offset1:1
	s_waitcnt lgkmcnt(1)
	v_add_u32_e32 v6, v7, v6
	s_waitcnt lgkmcnt(0)
	v_add_u32_e32 v8, v9, v8
	ds_write2_b32 v2, v7, v6 offset1:1
	ds_write2_b32 v5, v9, v8 offset1:1
.LBB6_34:
	s_or_b64 exec, exec, s[2:3]
	v_cmp_eq_u32_e64 s[0:1], 0, v0
	s_waitcnt lgkmcnt(0)
	s_barrier
                                        ; implicit-def: $sgpr12_sgpr13
                                        ; implicit-def: $sgpr10_sgpr11
                                        ; implicit-def: $sgpr2_sgpr3
                                        ; implicit-def: $sgpr8_sgpr9
                                        ; implicit-def: $sgpr4_sgpr5
	s_and_saveexec_b64 s[14:15], s[0:1]
	s_cbranch_execz .LBB6_40
; %bb.35:
	v_mov_b32_e32 v2, 0
	ds_read_b32 v0, v2 offset:1044
	s_mov_b64 s[8:9], exec
	s_mul_i32 s3, s21, 20
	v_mbcnt_lo_u32_b32 v5, s8, 0
	s_mul_hi_u32 s2, s21, 20
	s_add_u32 s4, s22, s3
	v_mbcnt_hi_u32_b32 v5, s9, v5
	s_addc_u32 s5, s23, s2
	v_cmp_eq_u32_e64 s[2:3], 0, v5
                                        ; implicit-def: $vgpr6
	s_and_saveexec_b64 s[10:11], s[2:3]
	s_cbranch_execz .LBB6_37
; %bb.36:
	s_bcnt1_i32_b64 s2, s[8:9]
	s_waitcnt lgkmcnt(0)
	v_mul_lo_u32 v6, v0, s2
	global_atomic_add v6, v2, v6, s[4:5] glc
.LBB6_37:
	s_or_b64 exec, exec, s[10:11]
	s_waitcnt lgkmcnt(0)
	v_mul_lo_u32 v5, v0, v5
	ds_read_b32 v0, v2 offset:524
	s_waitcnt vmcnt(0)
	v_readfirstlane_b32 s2, v6
	s_mov_b64 s[10:11], exec
	v_add_u32_e32 v5, s2, v5
	ds_write_b32 v2, v5 offset:520
	v_mbcnt_lo_u32_b32 v5, s10, 0
	s_add_u32 s8, s4, 4
	v_mbcnt_hi_u32_b32 v5, s11, v5
	s_addc_u32 s9, s5, 0
	s_waitcnt lgkmcnt(1)
	v_sub_u32_e32 v2, 0, v0
	v_cmp_eq_u32_e64 s[2:3], 0, v5
                                        ; implicit-def: $vgpr6
	s_and_saveexec_b64 s[12:13], s[2:3]
	s_cbranch_execz .LBB6_39
; %bb.38:
	s_bcnt1_i32_b64 s2, s[10:11]
	v_mul_lo_u32 v6, v2, s2
	v_mov_b32_e32 v7, 0
	global_atomic_add v6, v7, v6, s[8:9] glc
.LBB6_39:
	s_or_b64 exec, exec, s[12:13]
	s_add_u32 s2, s4, 8
	v_mul_lo_u32 v2, v2, v5
	s_addc_u32 s3, s5, 0
	s_add_u32 s10, s4, 12
	s_addc_u32 s11, s5, 0
	s_waitcnt vmcnt(0)
	v_readfirstlane_b32 s21, v6
	s_add_u32 s12, s4, 16
	v_add_u32_e32 v2, s21, v2
	s_addc_u32 s13, s5, 0
	v_sub_u32_e32 v0, v2, v0
	v_mov_b32_e32 v2, 0
	ds_write_b32 v2, v0 offset:516
.LBB6_40:
	s_or_b64 exec, exec, s[14:15]
	s_and_b64 s[14:15], s[30:31], exec
	s_cselect_b32 s21, s19, s17
	s_cselect_b32 s24, s18, s16
	s_waitcnt lgkmcnt(0)
	s_barrier
	s_and_saveexec_b64 s[14:15], vcc
	s_cbranch_execz .LBB6_47
; %bb.41:
	v_mov_b32_e32 v2, 0
	ds_read_b32 v0, v4
	ds_read2_b32 v[4:5], v2 offset0:129 offset1:130
	ds_read_b32 v6, v3
	s_mov_b64 s[18:19], 0
	s_waitcnt lgkmcnt(1)
	v_add_u32_e32 v3, v0, v4
	s_waitcnt lgkmcnt(0)
	v_add_u32_e32 v5, v6, v5
	v_mov_b32_e32 v0, s33
	s_branch .LBB6_43
.LBB6_42:                               ;   in Loop: Header=BB6_43 Depth=1
	s_or_b64 exec, exec, s[22:23]
	v_add_u32_e32 v1, 0x80, v1
	v_cmp_le_u32_e32 vcc, s25, v1
	s_or_b64 s[18:19], vcc, s[18:19]
	s_andn2_b64 exec, exec, s[18:19]
	s_cbranch_execz .LBB6_47
.LBB6_43:                               ; =>This Inner Loop Header: Depth=1
	v_lshlrev_b64 v[6:7], 3, v[1:2]
	v_add_co_u32_e32 v6, vcc, s7, v6
	v_addc_co_u32_e32 v7, vcc, v0, v7, vcc
	global_load_dwordx2 v[6:7], v[6:7], off
	s_waitcnt vmcnt(0)
	v_cvt_u32_f64_e32 v4, v[6:7]
	v_cvt_f64_u32_e32 v[7:8], v4
	v_cmp_gt_f64_e32 vcc, s[26:27], v[7:8]
	s_and_saveexec_b64 s[22:23], vcc
	s_cbranch_execz .LBB6_45
; %bb.44:                               ;   in Loop: Header=BB6_43 Depth=1
	v_mov_b32_e32 v6, v2
	v_lshlrev_b64 v[9:10], 3, v[5:6]
	v_mov_b32_e32 v4, s21
	v_add_co_u32_e32 v9, vcc, s24, v9
	v_addc_co_u32_e32 v10, vcc, v4, v10, vcc
	v_add_u32_e32 v5, 1, v5
	global_store_dwordx2 v[9:10], v[7:8], off
.LBB6_45:                               ;   in Loop: Header=BB6_43 Depth=1
	s_or_b64 exec, exec, s[22:23]
	v_cmp_lt_f64_e32 vcc, s[26:27], v[7:8]
	s_and_saveexec_b64 s[22:23], vcc
	s_cbranch_execz .LBB6_42
; %bb.46:                               ;   in Loop: Header=BB6_43 Depth=1
	v_mov_b32_e32 v4, v2
	v_lshlrev_b64 v[9:10], 3, v[3:4]
	v_mov_b32_e32 v4, s21
	v_add_co_u32_e32 v9, vcc, s24, v9
	v_addc_co_u32_e32 v10, vcc, v4, v10, vcc
	v_add_u32_e32 v3, 1, v3
	global_store_dwordx2 v[9:10], v[7:8], off
	s_branch .LBB6_42
.LBB6_47:
	s_or_b64 exec, exec, s[14:15]
	s_waitcnt vmcnt(0)
	s_barrier
	s_and_saveexec_b64 s[14:15], s[0:1]
	s_cbranch_execz .LBB6_59
; %bb.48:
	s_mov_b64 s[14:15], exec
	v_mbcnt_lo_u32_b32 v0, s14, 0
	v_mbcnt_hi_u32_b32 v0, s15, v0
	v_cmp_eq_u32_e32 vcc, 0, v0
                                        ; implicit-def: $vgpr1
	s_and_saveexec_b64 s[0:1], vcc
	s_cbranch_execz .LBB6_50
; %bb.49:
	s_bcnt1_i32_b64 s7, s[14:15]
	s_sub_i32 s7, 0, s7
	v_mov_b32_e32 v1, 0
	v_mov_b32_e32 v2, s7
	global_atomic_add v1, v1, v2, s[12:13] glc
.LBB6_50:
	s_or_b64 exec, exec, s[0:1]
	s_waitcnt vmcnt(0)
	v_readfirstlane_b32 s0, v1
	v_sub_u32_e32 v0, s0, v0
	v_cmp_eq_u32_e32 vcc, 0, v0
	s_and_b64 exec, exec, vcc
	s_cbranch_execz .LBB6_59
; %bb.51:
	v_mov_b32_e32 v2, 0
	global_load_dword v0, v2, s[4:5]
	global_load_dword v1, v2, s[8:9]
	;; [unrolled: 1-line block ×4, first 2 shown]
	s_waitcnt vmcnt(3)
	v_readfirstlane_b32 s2, v0
	s_waitcnt vmcnt(2)
	v_cmp_ge_u32_e32 vcc, v0, v1
	v_readfirstlane_b32 s0, v1
	s_waitcnt vmcnt(1)
	v_readfirstlane_b32 s4, v3
	s_waitcnt vmcnt(0)
	v_readfirstlane_b32 s7, v4
	s_cbranch_vccnz .LBB6_54
; %bb.52:
	s_mov_b32 s3, 0
	s_lshl_b64 s[8:9], s[2:3], 3
	s_add_u32 s8, s16, s8
	v_mov_b32_e32 v0, s26
	s_addc_u32 s9, s17, s9
	v_mov_b32_e32 v1, s27
	s_mov_b32 s1, s2
.LBB6_53:                               ; =>This Inner Loop Header: Depth=1
	s_add_i32 s1, s1, 1
	global_store_dwordx2 v2, v[0:1], s[8:9]
	s_add_u32 s8, s8, 8
	s_addc_u32 s9, s9, 0
	s_cmp_lt_u32 s1, s0
	s_cbranch_scc1 .LBB6_53
.LBB6_54:
	s_mov_b32 s5, 0
	s_lshl_b64 s[8:9], s[4:5], 3
	s_add_u32 s8, s24, s8
	s_addc_u32 s9, s21, s9
	global_load_dwordx2 v[3:4], v2, s[8:9]
	s_add_i32 s8, s7, -1
	s_mov_b32 s9, s5
	s_lshl_b64 s[8:9], s[8:9], 3
	s_add_u32 s8, s24, s8
	s_addc_u32 s9, s21, s9
	global_load_dwordx2 v[0:1], v2, s[8:9]
	s_cmp_ge_u32 s4, s2
	s_waitcnt vmcnt(1)
	v_cvt_u32_f64_e32 v2, v[3:4]
	s_cbranch_scc1 .LBB6_56
; %bb.55:
	s_add_i32 s1, s4, s2
	s_lshr_b32 s8, s1, 1
	s_mov_b32 s9, s5
	s_lshl_b64 s[8:9], s[8:9], 3
	s_add_u32 s8, s24, s8
	s_addc_u32 s9, s21, s9
	v_mov_b32_e32 v5, 0
	global_load_dwordx2 v[3:4], v5, s[8:9]
	s_add_i32 s8, s2, -1
	s_mov_b32 s9, s5
	s_lshl_b64 s[8:9], s[8:9], 3
	s_add_u32 s8, s24, s8
	s_addc_u32 s9, s21, s9
	global_load_dwordx2 v[5:6], v5, s[8:9]
	s_waitcnt vmcnt(1)
	v_cvt_u32_f64_e32 v3, v[3:4]
	s_waitcnt vmcnt(0)
	v_cvt_u32_f64_e32 v4, v[5:6]
	v_max_u32_e32 v5, v2, v3
	v_min_u32_e32 v2, v2, v3
	v_max_u32_e32 v2, v2, v4
	v_cmp_lt_u32_e32 vcc, v5, v4
	v_cndmask_b32_e32 v2, v2, v5, vcc
.LBB6_56:
	s_waitcnt vmcnt(0)
	v_cvt_u32_f64_e32 v0, v[0:1]
	s_cmp_ge_u32 s0, s7
	s_cbranch_scc1 .LBB6_58
; %bb.57:
	s_mov_b32 s1, 0
	s_lshl_b64 s[8:9], s[0:1], 3
	s_add_u32 s8, s24, s8
	s_addc_u32 s9, s21, s9
	s_add_i32 s3, s7, s0
	s_lshr_b32 s10, s3, 1
	s_mov_b32 s11, s1
	s_lshl_b64 s[10:11], s[10:11], 3
	v_mov_b32_e32 v1, 0
	s_add_u32 s10, s24, s10
	s_addc_u32 s11, s21, s11
	global_load_dwordx2 v[3:4], v1, s[8:9]
	global_load_dwordx2 v[5:6], v1, s[10:11]
	s_waitcnt vmcnt(1)
	v_cvt_u32_f64_e32 v1, v[3:4]
	s_waitcnt vmcnt(0)
	v_cvt_u32_f64_e32 v3, v[5:6]
	v_max_u32_e32 v4, v1, v3
	v_min_u32_e32 v1, v1, v3
	v_max_u32_e32 v1, v1, v0
	v_cmp_lt_u32_e32 vcc, v4, v0
	v_cndmask_b32_e32 v0, v1, v4, vcc
.LBB6_58:
	v_cvt_f64_u32_e32 v[3:4], v2
	s_lshl_b32 s1, s6, 1
	s_mul_i32 s6, s6, 48
	s_mul_hi_u32 s1, s1, 24
	s_add_u32 s8, s28, s6
	s_addc_u32 s9, s29, s1
	v_mov_b32_e32 v5, 0
	v_mov_b32_e32 v1, s4
	;; [unrolled: 1-line block ×3, first 2 shown]
	global_store_dwordx4 v5, v[1:4], s[8:9]
	s_xor_b32 s1, s20, 1
	v_cvt_f64_u32_e32 v[2:3], v0
	v_mov_b32_e32 v4, s1
	v_mov_b32_e32 v0, s0
	;; [unrolled: 1-line block ×3, first 2 shown]
	global_store_dword v5, v4, s[8:9] offset:16
	global_store_dwordx4 v5, v[0:3], s[8:9] offset:24
	global_store_dword v5, v4, s[8:9] offset:40
.LBB6_59:
	s_endpgm
	.section	.rodata,"a",@progbits
	.p2align	6, 0x0
	.amdhsa_kernel _Z13gqsort_kernelIdEvPT_S1_P12block_recordIS0_EP13parent_recordP11work_recordIS0_E
		.amdhsa_group_segment_fixed_size 1048
		.amdhsa_private_segment_fixed_size 0
		.amdhsa_kernarg_size 40
		.amdhsa_user_sgpr_count 6
		.amdhsa_user_sgpr_private_segment_buffer 1
		.amdhsa_user_sgpr_dispatch_ptr 0
		.amdhsa_user_sgpr_queue_ptr 0
		.amdhsa_user_sgpr_kernarg_segment_ptr 1
		.amdhsa_user_sgpr_dispatch_id 0
		.amdhsa_user_sgpr_flat_scratch_init 0
		.amdhsa_user_sgpr_private_segment_size 0
		.amdhsa_uses_dynamic_stack 0
		.amdhsa_system_sgpr_private_segment_wavefront_offset 0
		.amdhsa_system_sgpr_workgroup_id_x 1
		.amdhsa_system_sgpr_workgroup_id_y 0
		.amdhsa_system_sgpr_workgroup_id_z 0
		.amdhsa_system_sgpr_workgroup_info 0
		.amdhsa_system_vgpr_workitem_id 0
		.amdhsa_next_free_vgpr 20
		.amdhsa_next_free_sgpr 36
		.amdhsa_reserve_vcc 1
		.amdhsa_reserve_flat_scratch 0
		.amdhsa_float_round_mode_32 0
		.amdhsa_float_round_mode_16_64 0
		.amdhsa_float_denorm_mode_32 3
		.amdhsa_float_denorm_mode_16_64 3
		.amdhsa_dx10_clamp 1
		.amdhsa_ieee_mode 1
		.amdhsa_fp16_overflow 0
		.amdhsa_exception_fp_ieee_invalid_op 0
		.amdhsa_exception_fp_denorm_src 0
		.amdhsa_exception_fp_ieee_div_zero 0
		.amdhsa_exception_fp_ieee_overflow 0
		.amdhsa_exception_fp_ieee_underflow 0
		.amdhsa_exception_fp_ieee_inexact 0
		.amdhsa_exception_int_div_zero 0
	.end_amdhsa_kernel
	.section	.text._Z13gqsort_kernelIdEvPT_S1_P12block_recordIS0_EP13parent_recordP11work_recordIS0_E,"axG",@progbits,_Z13gqsort_kernelIdEvPT_S1_P12block_recordIS0_EP13parent_recordP11work_recordIS0_E,comdat
.Lfunc_end6:
	.size	_Z13gqsort_kernelIdEvPT_S1_P12block_recordIS0_EP13parent_recordP11work_recordIS0_E, .Lfunc_end6-_Z13gqsort_kernelIdEvPT_S1_P12block_recordIS0_EP13parent_recordP11work_recordIS0_E
                                        ; -- End function
	.set _Z13gqsort_kernelIdEvPT_S1_P12block_recordIS0_EP13parent_recordP11work_recordIS0_E.num_vgpr, 20
	.set _Z13gqsort_kernelIdEvPT_S1_P12block_recordIS0_EP13parent_recordP11work_recordIS0_E.num_agpr, 0
	.set _Z13gqsort_kernelIdEvPT_S1_P12block_recordIS0_EP13parent_recordP11work_recordIS0_E.numbered_sgpr, 36
	.set _Z13gqsort_kernelIdEvPT_S1_P12block_recordIS0_EP13parent_recordP11work_recordIS0_E.num_named_barrier, 0
	.set _Z13gqsort_kernelIdEvPT_S1_P12block_recordIS0_EP13parent_recordP11work_recordIS0_E.private_seg_size, 0
	.set _Z13gqsort_kernelIdEvPT_S1_P12block_recordIS0_EP13parent_recordP11work_recordIS0_E.uses_vcc, 1
	.set _Z13gqsort_kernelIdEvPT_S1_P12block_recordIS0_EP13parent_recordP11work_recordIS0_E.uses_flat_scratch, 0
	.set _Z13gqsort_kernelIdEvPT_S1_P12block_recordIS0_EP13parent_recordP11work_recordIS0_E.has_dyn_sized_stack, 0
	.set _Z13gqsort_kernelIdEvPT_S1_P12block_recordIS0_EP13parent_recordP11work_recordIS0_E.has_recursion, 0
	.set _Z13gqsort_kernelIdEvPT_S1_P12block_recordIS0_EP13parent_recordP11work_recordIS0_E.has_indirect_call, 0
	.section	.AMDGPU.csdata,"",@progbits
; Kernel info:
; codeLenInByte = 2972
; TotalNumSgprs: 40
; NumVgprs: 20
; ScratchSize: 0
; MemoryBound: 0
; FloatMode: 240
; IeeeMode: 1
; LDSByteSize: 1048 bytes/workgroup (compile time only)
; SGPRBlocks: 4
; VGPRBlocks: 4
; NumSGPRsForWavesPerEU: 40
; NumVGPRsForWavesPerEU: 20
; Occupancy: 10
; WaveLimiterHint : 1
; COMPUTE_PGM_RSRC2:SCRATCH_EN: 0
; COMPUTE_PGM_RSRC2:USER_SGPR: 6
; COMPUTE_PGM_RSRC2:TRAP_HANDLER: 0
; COMPUTE_PGM_RSRC2:TGID_X_EN: 1
; COMPUTE_PGM_RSRC2:TGID_Y_EN: 0
; COMPUTE_PGM_RSRC2:TGID_Z_EN: 0
; COMPUTE_PGM_RSRC2:TIDIG_COMP_CNT: 0
	.text
	.p2align	2                               ; -- Begin function _Z14sort_thresholdIdEvPT_S1_jjS1_j
	.type	_Z14sort_thresholdIdEvPT_S1_jjS1_j,@function
_Z14sort_thresholdIdEvPT_S1_jjS1_j:     ; @_Z14sort_thresholdIdEvPT_S1_jjS1_j
; %bb.0:
	s_waitcnt vmcnt(0) expcnt(0) lgkmcnt(0)
	v_sub_u32_e32 v5, v5, v4
	s_movk_i32 s4, 0x100
	v_cmp_ne_u32_e32 vcc, s4, v5
	s_and_saveexec_b64 s[4:5], vcc
	s_xor_b64 s[6:7], exec, s[4:5]
	s_cbranch_execnz .LBB7_3
; %bb.1:
	s_andn2_saveexec_b64 s[6:7], s[6:7]
	s_cbranch_execnz .LBB7_18
.LBB7_2:
	s_or_b64 exec, exec, s[6:7]
	s_waitcnt vmcnt(0) lgkmcnt(0)
	s_setpc_b64 s[30:31]
.LBB7_3:
	v_cmp_gt_u32_e32 vcc, 2, v5
	s_and_saveexec_b64 s[4:5], vcc
	s_xor_b64 s[8:9], exec, s[4:5]
	s_cbranch_execz .LBB7_7
; %bb.4:
	v_cmp_eq_u32_e32 vcc, 1, v5
	v_cmp_eq_u32_e64 s[4:5], 0, v6
	s_and_b64 s[10:11], vcc, s[4:5]
	s_and_saveexec_b64 s[4:5], s[10:11]
	s_cbranch_execz .LBB7_6
; %bb.5:
	v_mov_b32_e32 v5, 0
	v_lshlrev_b64 v[4:5], 3, v[4:5]
	v_add_co_u32_e32 v0, vcc, v0, v4
	v_addc_co_u32_e32 v1, vcc, v1, v5, vcc
	flat_load_dwordx2 v[0:1], v[0:1]
	v_add_co_u32_e32 v2, vcc, v2, v4
	v_addc_co_u32_e32 v3, vcc, v3, v5, vcc
	s_waitcnt vmcnt(0) lgkmcnt(0)
	flat_store_dwordx2 v[2:3], v[0:1]
.LBB7_6:
	s_or_b64 exec, exec, s[4:5]
                                        ; implicit-def: $vgpr6
                                        ; implicit-def: $vgpr5
                                        ; implicit-def: $vgpr4
                                        ; implicit-def: $vgpr2
                                        ; implicit-def: $vgpr3
                                        ; implicit-def: $vgpr0
                                        ; implicit-def: $vgpr1
.LBB7_7:
	s_andn2_saveexec_b64 s[4:5], s[8:9]
	s_cbranch_execz .LBB7_17
; %bb.8:
	s_movk_i32 s8, 0x100
	v_cmp_gt_u32_e32 vcc, s8, v6
	s_and_saveexec_b64 s[8:9], vcc
	s_cbranch_execz .LBB7_13
; %bb.9:
	v_mov_b32_e32 v7, 0x6c00
	v_lshl_add_u32 v13, v6, 3, v7
	s_mov_b64 s[10:11], 0
	v_mov_b32_e32 v7, 0xffe00000
	v_mov_b32_e32 v8, 0x41efffff
	;; [unrolled: 1-line block ×3, first 2 shown]
	s_movk_i32 s14, 0x7f
	v_mov_b32_e32 v14, v6
	s_branch .LBB7_11
.LBB7_10:                               ;   in Loop: Header=BB7_11 Depth=1
	s_or_b64 exec, exec, s[12:13]
	v_add_u32_e32 v9, 0x80, v14
	v_cmp_lt_u32_e32 vcc, s14, v14
	s_waitcnt vmcnt(0) lgkmcnt(0)
	ds_write_b64 v13, v[11:12]
	v_add_u32_e32 v13, 0x400, v13
	s_or_b64 s[10:11], vcc, s[10:11]
	v_mov_b32_e32 v14, v9
	s_andn2_b64 exec, exec, s[10:11]
	s_cbranch_execz .LBB7_13
.LBB7_11:                               ; =>This Inner Loop Header: Depth=1
	v_mov_b32_e32 v12, v8
	v_cmp_lt_u32_e32 vcc, v14, v5
	v_mov_b32_e32 v11, v7
	s_and_saveexec_b64 s[12:13], vcc
	s_cbranch_execz .LBB7_10
; %bb.12:                               ;   in Loop: Header=BB7_11 Depth=1
	v_add_u32_e32 v9, v4, v14
	v_lshlrev_b64 v[11:12], 3, v[9:10]
	v_add_co_u32_e32 v11, vcc, v0, v11
	v_addc_co_u32_e32 v12, vcc, v1, v12, vcc
	flat_load_dwordx2 v[11:12], v[11:12]
	s_branch .LBB7_10
.LBB7_13:
	s_or_b64 exec, exec, s[8:9]
	v_lshlrev_b32_e32 v0, 4, v6
	s_waitcnt vmcnt(0) lgkmcnt(0)
	s_barrier
	ds_read_b128 v[7:10], v0 offset:27648
	v_and_b32_e32 v13, 1, v6
	v_cmp_eq_u32_e32 vcc, 0, v13
	v_and_b32_e32 v17, 0x7f, v6
	s_waitcnt lgkmcnt(0)
	v_cvt_u32_f64_e32 v1, v[7:8]
	v_cvt_u32_f64_e32 v7, v[9:10]
	v_max_u32_e32 v8, v1, v7
	v_min_u32_e32 v1, v1, v7
	v_cndmask_b32_e32 v7, v8, v1, vcc
	v_cndmask_b32_e32 v1, v1, v8, vcc
	v_cvt_f64_u32_e32 v[9:10], v7
	v_cvt_f64_u32_e32 v[11:12], v1
	v_lshlrev_b32_e32 v8, 1, v6
	v_sub_u32_e32 v1, v8, v13
	v_lshlrev_b32_e32 v1, 3, v1
	v_add_u32_e32 v1, 0x6800, v1
	ds_write_b128 v0, v[9:12] offset:27648
	s_waitcnt lgkmcnt(0)
	s_barrier
	ds_read2_b64 v[9:12], v1 offset0:128 offset1:130
	s_waitcnt lgkmcnt(0)
	v_cvt_u32_f64_e32 v7, v[9:10]
	v_cvt_u32_f64_e32 v9, v[11:12]
	v_and_b32_e32 v10, 2, v6
	v_cmp_eq_u32_e32 vcc, 0, v10
	v_max_u32_e32 v11, v7, v9
	v_min_u32_e32 v7, v7, v9
	v_cndmask_b32_e32 v9, v11, v7, vcc
	v_cndmask_b32_e32 v7, v7, v11, vcc
	v_cvt_f64_u32_e32 v[9:10], v9
	v_cvt_f64_u32_e32 v[11:12], v7
	ds_write2_b64 v1, v[9:10], v[11:12] offset0:128 offset1:130
	s_waitcnt lgkmcnt(0)
	s_barrier
	ds_read_b128 v[9:12], v0 offset:27648
	s_waitcnt lgkmcnt(0)
	v_cvt_u32_f64_e32 v7, v[9:10]
	v_cvt_u32_f64_e32 v9, v[11:12]
	v_max_u32_e32 v11, v7, v9
	v_min_u32_e32 v7, v7, v9
	v_cndmask_b32_e32 v9, v11, v7, vcc
	v_cndmask_b32_e32 v7, v7, v11, vcc
	v_cvt_f64_u32_e32 v[9:10], v9
	v_cvt_f64_u32_e32 v[11:12], v7
	v_and_b32_e32 v7, 3, v6
	v_sub_u32_e32 v7, v8, v7
	v_lshlrev_b32_e32 v7, 3, v7
	v_add_u32_e32 v7, 0x6800, v7
	ds_write_b128 v0, v[9:12] offset:27648
	s_waitcnt lgkmcnt(0)
	s_barrier
	ds_read2_b64 v[9:12], v7 offset0:128 offset1:132
	s_waitcnt lgkmcnt(0)
	v_cvt_u32_f64_e32 v9, v[9:10]
	v_cvt_u32_f64_e32 v10, v[11:12]
	v_and_b32_e32 v11, 4, v6
	v_cmp_eq_u32_e32 vcc, 0, v11
	v_max_u32_e32 v12, v9, v10
	v_min_u32_e32 v13, v9, v10
	v_cndmask_b32_e32 v9, v12, v13, vcc
	v_cndmask_b32_e32 v11, v13, v12, vcc
	v_cvt_f64_u32_e32 v[9:10], v9
	v_cvt_f64_u32_e32 v[11:12], v11
	ds_write2_b64 v7, v[9:10], v[11:12] offset0:128 offset1:132
	s_waitcnt lgkmcnt(0)
	s_barrier
	ds_read2_b64 v[9:12], v1 offset0:128 offset1:130
	s_waitcnt lgkmcnt(0)
	v_cvt_u32_f64_e32 v9, v[9:10]
	v_cvt_u32_f64_e32 v10, v[11:12]
	v_max_u32_e32 v11, v9, v10
	v_min_u32_e32 v12, v9, v10
	v_cndmask_b32_e32 v9, v11, v12, vcc
	v_cndmask_b32_e32 v11, v12, v11, vcc
	v_cvt_f64_u32_e32 v[9:10], v9
	v_cvt_f64_u32_e32 v[11:12], v11
	ds_write2_b64 v1, v[9:10], v[11:12] offset0:128 offset1:130
	s_waitcnt lgkmcnt(0)
	s_barrier
	ds_read_b128 v[9:12], v0 offset:27648
	s_waitcnt lgkmcnt(0)
	v_cvt_u32_f64_e32 v9, v[9:10]
	v_cvt_u32_f64_e32 v10, v[11:12]
	v_max_u32_e32 v11, v9, v10
	v_min_u32_e32 v12, v9, v10
	v_cndmask_b32_e32 v9, v11, v12, vcc
	v_cndmask_b32_e32 v11, v12, v11, vcc
	v_cvt_f64_u32_e32 v[9:10], v9
	v_cvt_f64_u32_e32 v[11:12], v11
	ds_write_b128 v0, v[9:12] offset:27648
	v_and_b32_e32 v9, 7, v6
	v_sub_u32_e32 v9, v8, v9
	v_lshlrev_b32_e32 v9, 3, v9
	v_add_u32_e32 v9, 0x6800, v9
	s_waitcnt lgkmcnt(0)
	s_barrier
	ds_read2_b64 v[10:13], v9 offset0:128 offset1:136
	s_waitcnt lgkmcnt(0)
	v_cvt_u32_f64_e32 v10, v[10:11]
	v_cvt_u32_f64_e32 v11, v[12:13]
	v_and_b32_e32 v12, 8, v6
	v_cmp_eq_u32_e32 vcc, 0, v12
	v_max_u32_e32 v13, v10, v11
	v_min_u32_e32 v14, v10, v11
	v_cndmask_b32_e32 v10, v13, v14, vcc
	v_cndmask_b32_e32 v12, v14, v13, vcc
	v_cvt_f64_u32_e32 v[10:11], v10
	v_cvt_f64_u32_e32 v[12:13], v12
	ds_write2_b64 v9, v[10:11], v[12:13] offset0:128 offset1:136
	s_waitcnt lgkmcnt(0)
	s_barrier
	ds_read2_b64 v[10:13], v7 offset0:128 offset1:132
	s_waitcnt lgkmcnt(0)
	v_cvt_u32_f64_e32 v10, v[10:11]
	v_cvt_u32_f64_e32 v11, v[12:13]
	v_max_u32_e32 v12, v10, v11
	v_min_u32_e32 v13, v10, v11
	v_cndmask_b32_e32 v10, v12, v13, vcc
	v_cndmask_b32_e32 v12, v13, v12, vcc
	v_cvt_f64_u32_e32 v[10:11], v10
	v_cvt_f64_u32_e32 v[12:13], v12
	ds_write2_b64 v7, v[10:11], v[12:13] offset0:128 offset1:132
	s_waitcnt lgkmcnt(0)
	s_barrier
	ds_read2_b64 v[10:13], v1 offset0:128 offset1:130
	s_waitcnt lgkmcnt(0)
	v_cvt_u32_f64_e32 v10, v[10:11]
	v_cvt_u32_f64_e32 v11, v[12:13]
	v_max_u32_e32 v12, v10, v11
	v_min_u32_e32 v13, v10, v11
	v_cndmask_b32_e32 v10, v12, v13, vcc
	v_cndmask_b32_e32 v12, v13, v12, vcc
	v_cvt_f64_u32_e32 v[10:11], v10
	v_cvt_f64_u32_e32 v[12:13], v12
	ds_write2_b64 v1, v[10:11], v[12:13] offset0:128 offset1:130
	s_waitcnt lgkmcnt(0)
	s_barrier
	ds_read_b128 v[10:13], v0 offset:27648
	s_waitcnt lgkmcnt(0)
	v_cvt_u32_f64_e32 v10, v[10:11]
	v_cvt_u32_f64_e32 v11, v[12:13]
	v_max_u32_e32 v12, v10, v11
	v_min_u32_e32 v13, v10, v11
	v_cndmask_b32_e32 v10, v12, v13, vcc
	v_cndmask_b32_e32 v12, v13, v12, vcc
	v_cvt_f64_u32_e32 v[10:11], v10
	v_cvt_f64_u32_e32 v[12:13], v12
	ds_write_b128 v0, v[10:13] offset:27648
	v_and_b32_e32 v10, 15, v6
	v_sub_u32_e32 v10, v8, v10
	v_lshlrev_b32_e32 v10, 3, v10
	v_add_u32_e32 v10, 0x6800, v10
	s_waitcnt lgkmcnt(0)
	s_barrier
	ds_read2_b64 v[11:14], v10 offset0:128 offset1:144
	s_waitcnt lgkmcnt(0)
	v_cvt_u32_f64_e32 v11, v[11:12]
	v_cvt_u32_f64_e32 v12, v[13:14]
	v_and_b32_e32 v13, 16, v6
	v_cmp_eq_u32_e32 vcc, 0, v13
	v_max_u32_e32 v14, v11, v12
	v_min_u32_e32 v15, v11, v12
	v_cndmask_b32_e32 v11, v14, v15, vcc
	v_cndmask_b32_e32 v13, v15, v14, vcc
	v_cvt_f64_u32_e32 v[11:12], v11
	v_cvt_f64_u32_e32 v[13:14], v13
	v_and_b32_e32 v15, 31, v6
	v_sub_u32_e32 v15, v8, v15
	ds_write2_b64 v10, v[11:12], v[13:14] offset0:128 offset1:144
	s_waitcnt lgkmcnt(0)
	s_barrier
	ds_read2_b64 v[11:14], v9 offset0:128 offset1:136
	s_waitcnt lgkmcnt(0)
	v_cvt_u32_f64_e32 v11, v[11:12]
	v_cvt_u32_f64_e32 v12, v[13:14]
	v_max_u32_e32 v13, v11, v12
	v_min_u32_e32 v14, v11, v12
	v_cndmask_b32_e32 v11, v13, v14, vcc
	v_cndmask_b32_e32 v13, v14, v13, vcc
	v_cvt_f64_u32_e32 v[11:12], v11
	v_cvt_f64_u32_e32 v[13:14], v13
	ds_write2_b64 v9, v[11:12], v[13:14] offset0:128 offset1:136
	s_waitcnt lgkmcnt(0)
	s_barrier
	ds_read2_b64 v[11:14], v7 offset0:128 offset1:132
	s_waitcnt lgkmcnt(0)
	v_cvt_u32_f64_e32 v11, v[11:12]
	v_cvt_u32_f64_e32 v12, v[13:14]
	v_max_u32_e32 v13, v11, v12
	v_min_u32_e32 v14, v11, v12
	v_cndmask_b32_e32 v11, v13, v14, vcc
	v_cndmask_b32_e32 v13, v14, v13, vcc
	v_cvt_f64_u32_e32 v[11:12], v11
	v_cvt_f64_u32_e32 v[13:14], v13
	;; [unrolled: 13-line block ×3, first 2 shown]
	ds_write2_b64 v1, v[11:12], v[13:14] offset0:128 offset1:130
	s_waitcnt lgkmcnt(0)
	s_barrier
	ds_read_b128 v[11:14], v0 offset:27648
	s_waitcnt lgkmcnt(0)
	v_cvt_u32_f64_e32 v11, v[11:12]
	v_cvt_u32_f64_e32 v12, v[13:14]
	v_max_u32_e32 v13, v11, v12
	v_min_u32_e32 v11, v11, v12
	v_cndmask_b32_e32 v12, v13, v11, vcc
	v_cndmask_b32_e32 v13, v11, v13, vcc
	v_cvt_f64_u32_e32 v[11:12], v12
	v_cvt_f64_u32_e32 v[13:14], v13
	ds_write_b128 v0, v[11:14] offset:27648
	v_lshlrev_b32_e32 v11, 3, v15
	v_add_u32_e32 v11, 0x6800, v11
	s_waitcnt lgkmcnt(0)
	s_barrier
	ds_read2_b64 v[12:15], v11 offset0:128 offset1:160
	s_waitcnt lgkmcnt(0)
	v_cvt_u32_f64_e32 v12, v[12:13]
	v_cvt_u32_f64_e32 v13, v[14:15]
	v_and_b32_e32 v14, 32, v6
	v_cmp_eq_u32_e32 vcc, 0, v14
	v_max_u32_e32 v15, v12, v13
	v_min_u32_e32 v16, v12, v13
	v_cndmask_b32_e32 v12, v15, v16, vcc
	v_cndmask_b32_e32 v14, v16, v15, vcc
	v_cvt_f64_u32_e32 v[12:13], v12
	v_cvt_f64_u32_e32 v[14:15], v14
	ds_write2_b64 v11, v[12:13], v[14:15] offset0:128 offset1:160
	s_waitcnt lgkmcnt(0)
	s_barrier
	ds_read2_b64 v[12:15], v10 offset0:128 offset1:144
	s_waitcnt lgkmcnt(0)
	v_cvt_u32_f64_e32 v12, v[12:13]
	v_cvt_u32_f64_e32 v13, v[14:15]
	v_max_u32_e32 v14, v12, v13
	v_min_u32_e32 v12, v12, v13
	v_cndmask_b32_e32 v13, v14, v12, vcc
	v_cndmask_b32_e32 v14, v12, v14, vcc
	v_cvt_f64_u32_e32 v[12:13], v13
	v_cvt_f64_u32_e32 v[14:15], v14
	ds_write2_b64 v10, v[12:13], v[14:15] offset0:128 offset1:144
	s_waitcnt lgkmcnt(0)
	s_barrier
	ds_read2_b64 v[12:15], v9 offset0:128 offset1:136
	s_waitcnt lgkmcnt(0)
	v_cvt_u32_f64_e32 v12, v[12:13]
	v_cvt_u32_f64_e32 v13, v[14:15]
	v_max_u32_e32 v14, v12, v13
	v_min_u32_e32 v12, v12, v13
	v_cndmask_b32_e32 v13, v14, v12, vcc
	v_cndmask_b32_e32 v14, v12, v14, vcc
	v_cvt_f64_u32_e32 v[12:13], v13
	v_cvt_f64_u32_e32 v[14:15], v14
	ds_write2_b64 v9, v[12:13], v[14:15] offset0:128 offset1:136
	s_waitcnt lgkmcnt(0)
	s_barrier
	ds_read2_b64 v[12:15], v7 offset0:128 offset1:132
	s_waitcnt lgkmcnt(0)
	v_cvt_u32_f64_e32 v12, v[12:13]
	v_cvt_u32_f64_e32 v13, v[14:15]
	v_max_u32_e32 v14, v12, v13
	v_min_u32_e32 v12, v12, v13
	v_cndmask_b32_e32 v13, v14, v12, vcc
	v_cndmask_b32_e32 v14, v12, v14, vcc
	v_cvt_f64_u32_e32 v[12:13], v13
	v_cvt_f64_u32_e32 v[14:15], v14
	ds_write2_b64 v7, v[12:13], v[14:15] offset0:128 offset1:132
	s_waitcnt lgkmcnt(0)
	s_barrier
	ds_read2_b64 v[12:15], v1 offset0:128 offset1:130
	s_waitcnt lgkmcnt(0)
	v_cvt_u32_f64_e32 v12, v[12:13]
	v_cvt_u32_f64_e32 v13, v[14:15]
	v_max_u32_e32 v14, v12, v13
	v_min_u32_e32 v12, v12, v13
	v_cndmask_b32_e32 v13, v14, v12, vcc
	v_cndmask_b32_e32 v14, v12, v14, vcc
	v_cvt_f64_u32_e32 v[12:13], v13
	v_cvt_f64_u32_e32 v[14:15], v14
	ds_write2_b64 v1, v[12:13], v[14:15] offset0:128 offset1:130
	s_waitcnt lgkmcnt(0)
	s_barrier
	ds_read_b128 v[12:15], v0 offset:27648
	s_waitcnt lgkmcnt(0)
	v_cvt_u32_f64_e32 v12, v[12:13]
	v_cvt_u32_f64_e32 v13, v[14:15]
	v_max_u32_e32 v14, v12, v13
	v_min_u32_e32 v12, v12, v13
	v_cndmask_b32_e32 v13, v14, v12, vcc
	v_cndmask_b32_e32 v12, v12, v14, vcc
	v_cvt_f64_u32_e32 v[13:14], v13
	v_cvt_f64_u32_e32 v[15:16], v12
	v_and_b32_e32 v12, 63, v6
	v_sub_u32_e32 v12, v8, v12
	v_lshlrev_b32_e32 v12, 3, v12
	ds_write_b128 v0, v[13:16] offset:27648
	s_waitcnt lgkmcnt(0)
	s_barrier
	ds_read2st64_b64 v[13:16], v12 offset0:54 offset1:55
	v_sub_u32_e32 v8, v8, v17
	v_lshlrev_b32_e32 v8, 3, v8
	s_waitcnt lgkmcnt(0)
	v_cvt_u32_f64_e32 v13, v[13:14]
	v_cvt_u32_f64_e32 v14, v[15:16]
	v_and_b32_e32 v15, 64, v6
	v_cmp_eq_u32_e32 vcc, 0, v15
	v_max_u32_e32 v16, v13, v14
	v_min_u32_e32 v13, v13, v14
	v_cndmask_b32_e32 v14, v16, v13, vcc
	v_cndmask_b32_e32 v15, v13, v16, vcc
	v_cvt_f64_u32_e32 v[13:14], v14
	v_cvt_f64_u32_e32 v[15:16], v15
	ds_write2st64_b64 v12, v[13:14], v[15:16] offset0:54 offset1:55
	s_waitcnt lgkmcnt(0)
	s_barrier
	ds_read2_b64 v[13:16], v11 offset0:128 offset1:160
	s_waitcnt lgkmcnt(0)
	v_cvt_u32_f64_e32 v13, v[13:14]
	v_cvt_u32_f64_e32 v14, v[15:16]
	v_max_u32_e32 v15, v13, v14
	v_min_u32_e32 v13, v13, v14
	v_cndmask_b32_e32 v14, v15, v13, vcc
	v_cndmask_b32_e32 v15, v13, v15, vcc
	v_cvt_f64_u32_e32 v[13:14], v14
	v_cvt_f64_u32_e32 v[15:16], v15
	ds_write2_b64 v11, v[13:14], v[15:16] offset0:128 offset1:160
	s_waitcnt lgkmcnt(0)
	s_barrier
	ds_read2_b64 v[13:16], v10 offset0:128 offset1:144
	s_waitcnt lgkmcnt(0)
	v_cvt_u32_f64_e32 v13, v[13:14]
	v_cvt_u32_f64_e32 v14, v[15:16]
	v_max_u32_e32 v15, v13, v14
	v_min_u32_e32 v13, v13, v14
	v_cndmask_b32_e32 v14, v15, v13, vcc
	v_cndmask_b32_e32 v15, v13, v15, vcc
	v_cvt_f64_u32_e32 v[13:14], v14
	v_cvt_f64_u32_e32 v[15:16], v15
	ds_write2_b64 v10, v[13:14], v[15:16] offset0:128 offset1:144
	;; [unrolled: 13-line block ×5, first 2 shown]
	s_waitcnt lgkmcnt(0)
	s_barrier
	ds_read_b128 v[13:16], v0 offset:27648
	s_waitcnt lgkmcnt(0)
	v_cvt_u32_f64_e32 v13, v[13:14]
	v_cvt_u32_f64_e32 v14, v[15:16]
	v_max_u32_e32 v15, v13, v14
	v_min_u32_e32 v13, v13, v14
	v_cndmask_b32_e32 v14, v15, v13, vcc
	v_cndmask_b32_e32 v15, v13, v15, vcc
	v_cvt_f64_u32_e32 v[13:14], v14
	v_cvt_f64_u32_e32 v[15:16], v15
	v_cmp_lt_u32_e32 vcc, v6, v5
	ds_write_b128 v0, v[13:16] offset:27648
	s_waitcnt lgkmcnt(0)
	s_barrier
	ds_read2st64_b64 v[13:16], v8 offset0:54 offset1:56
	s_waitcnt lgkmcnt(0)
	v_cvt_u32_f64_e32 v13, v[13:14]
	v_cvt_u32_f64_e32 v14, v[15:16]
	v_min_u32_e32 v15, v13, v14
	v_max_u32_e32 v16, v13, v14
	v_cvt_f64_u32_e32 v[13:14], v15
	v_cvt_f64_u32_e32 v[15:16], v16
	ds_write2st64_b64 v8, v[13:14], v[15:16] offset0:54 offset1:56
	s_waitcnt lgkmcnt(0)
	s_barrier
	ds_read2st64_b64 v[13:16], v12 offset0:54 offset1:55
	s_waitcnt lgkmcnt(0)
	v_cvt_u32_f64_e32 v8, v[13:14]
	v_cvt_u32_f64_e32 v13, v[15:16]
	v_min_u32_e32 v14, v8, v13
	v_max_u32_e32 v8, v8, v13
	v_cvt_f64_u32_e32 v[13:14], v14
	v_cvt_f64_u32_e32 v[15:16], v8
	ds_write2st64_b64 v12, v[13:14], v[15:16] offset0:54 offset1:55
	s_waitcnt lgkmcnt(0)
	s_barrier
	ds_read2_b64 v[12:15], v11 offset0:128 offset1:160
	s_waitcnt lgkmcnt(0)
	v_cvt_u32_f64_e32 v8, v[12:13]
	v_cvt_u32_f64_e32 v12, v[14:15]
	v_min_u32_e32 v13, v8, v12
	v_max_u32_e32 v8, v8, v12
	v_cvt_f64_u32_e32 v[12:13], v13
	v_cvt_f64_u32_e32 v[14:15], v8
	ds_write2_b64 v11, v[12:13], v[14:15] offset0:128 offset1:160
	s_waitcnt lgkmcnt(0)
	s_barrier
	ds_read2_b64 v[11:14], v10 offset0:128 offset1:144
	s_waitcnt lgkmcnt(0)
	v_cvt_u32_f64_e32 v8, v[11:12]
	v_cvt_u32_f64_e32 v11, v[13:14]
	v_min_u32_e32 v12, v8, v11
	v_max_u32_e32 v8, v8, v11
	v_cvt_f64_u32_e32 v[11:12], v12
	v_cvt_f64_u32_e32 v[13:14], v8
	ds_write2_b64 v10, v[11:12], v[13:14] offset0:128 offset1:144
	;; [unrolled: 11-line block ×5, first 2 shown]
	s_waitcnt lgkmcnt(0)
	s_barrier
	ds_read_b128 v[7:10], v0 offset:27648
	s_waitcnt lgkmcnt(0)
	v_cvt_u32_f64_e32 v1, v[7:8]
	v_cvt_u32_f64_e32 v7, v[9:10]
	v_min_u32_e32 v8, v1, v7
	v_max_u32_e32 v1, v1, v7
	v_cvt_f64_u32_e32 v[7:8], v8
	v_cvt_f64_u32_e32 v[9:10], v1
	ds_write_b128 v0, v[7:10] offset:27648
	s_waitcnt lgkmcnt(0)
	s_barrier
	s_and_saveexec_b64 s[8:9], vcc
	s_cbranch_execz .LBB7_16
; %bb.14:
	v_mov_b32_e32 v0, 0x6c00
	v_lshl_add_u32 v7, v6, 3, v0
	s_mov_b64 s[10:11], 0
	v_mov_b32_e32 v1, 0
.LBB7_15:                               ; =>This Inner Loop Header: Depth=1
	ds_read_b64 v[8:9], v7
	v_add_u32_e32 v0, v4, v6
	v_add_u32_e32 v6, 0x80, v6
	v_lshlrev_b64 v[10:11], 3, v[0:1]
	v_cmp_ge_u32_e32 vcc, v6, v5
	s_or_b64 s[10:11], vcc, s[10:11]
	v_add_co_u32_e32 v10, vcc, v2, v10
	v_add_u32_e32 v7, 0x400, v7
	v_addc_co_u32_e32 v11, vcc, v3, v11, vcc
	s_waitcnt lgkmcnt(0)
	flat_store_dwordx2 v[10:11], v[8:9]
	s_andn2_b64 exec, exec, s[10:11]
	s_cbranch_execnz .LBB7_15
.LBB7_16:
	s_or_b64 exec, exec, s[8:9]
.LBB7_17:
	s_or_b64 exec, exec, s[4:5]
                                        ; implicit-def: $vgpr4
                                        ; implicit-def: $vgpr0
                                        ; implicit-def: $vgpr1
                                        ; implicit-def: $vgpr6
                                        ; implicit-def: $vgpr2
                                        ; implicit-def: $vgpr3
	s_andn2_saveexec_b64 s[6:7], s[6:7]
	s_cbranch_execz .LBB7_2
.LBB7_18:
	v_mov_b32_e32 v8, 0
	v_mov_b32_e32 v5, v8
	v_lshlrev_b64 v[9:10], 3, v[4:5]
	v_lshlrev_b32_e32 v7, 1, v6
	v_add_co_u32_e32 v5, vcc, v0, v9
	v_addc_co_u32_e32 v35, vcc, v1, v10, vcc
	v_lshlrev_b64 v[9:10], 3, v[7:8]
	v_and_b32_e32 v21, 1, v6
	v_add_co_u32_e32 v9, vcc, v5, v9
	v_addc_co_u32_e32 v10, vcc, v35, v10, vcc
	flat_load_dwordx4 v[11:14], v[9:10]
	v_sub_u32_e32 v15, v7, v21
	v_mov_b32_e32 v16, v8
	v_lshlrev_b64 v[17:18], 3, v[15:16]
	v_ashrrev_i32_e32 v16, 31, v15
	v_lshlrev_b64 v[19:20], 3, v[15:16]
	s_movk_i32 s10, 0x7f
	s_waitcnt vmcnt(0) lgkmcnt(0)
	v_cvt_u32_f64_e32 v15, v[11:12]
	v_cvt_u32_f64_e32 v13, v[13:14]
	v_add_co_u32_e32 v11, vcc, v5, v17
	v_addc_co_u32_e32 v12, vcc, v35, v18, vcc
	v_max_u32_e32 v14, v15, v13
	v_min_u32_e32 v13, v15, v13
	v_cmp_eq_u32_e32 vcc, 0, v21
	v_cndmask_b32_e32 v15, v14, v13, vcc
	v_cndmask_b32_e32 v13, v13, v14, vcc
	v_cvt_f64_u32_e32 v[15:16], v15
	v_cvt_f64_u32_e32 v[17:18], v13
	v_add_co_u32_e32 v13, vcc, v5, v19
	v_addc_co_u32_e32 v14, vcc, v35, v20, vcc
	flat_store_dwordx4 v[9:10], v[15:18]
	s_waitcnt vmcnt(0) lgkmcnt(0)
	s_barrier
	flat_load_dwordx2 v[15:16], v[11:12]
	flat_load_dwordx2 v[17:18], v[13:14] offset:16
	v_and_b32_e32 v19, 3, v6
	v_sub_u32_e32 v19, v7, v19
	v_mov_b32_e32 v20, v8
	v_lshlrev_b64 v[21:22], 3, v[19:20]
	v_ashrrev_i32_e32 v20, 31, v19
	v_lshlrev_b64 v[23:24], 3, v[19:20]
	s_waitcnt vmcnt(0) lgkmcnt(0)
	v_cvt_u32_f64_e32 v15, v[15:16]
	v_cvt_u32_f64_e32 v16, v[17:18]
	v_and_b32_e32 v17, 2, v6
	v_cmp_eq_u32_e32 vcc, 0, v17
	v_max_u32_e32 v18, v15, v16
	v_min_u32_e32 v15, v15, v16
	v_cndmask_b32_e32 v16, v18, v15, vcc
	v_cndmask_b32_e32 v17, v15, v18, vcc
	v_cvt_f64_u32_e32 v[15:16], v16
	v_cvt_f64_u32_e32 v[17:18], v17
	flat_store_dwordx2 v[11:12], v[15:16]
	flat_store_dwordx2 v[13:14], v[17:18] offset:16
	s_waitcnt vmcnt(0) lgkmcnt(0)
	s_barrier
	flat_load_dwordx4 v[15:18], v[9:10]
	s_waitcnt vmcnt(0) lgkmcnt(0)
	v_cvt_u32_f64_e32 v19, v[15:16]
	v_cvt_u32_f64_e32 v17, v[17:18]
	v_add_co_u32_e64 v15, s[4:5], v5, v21
	v_addc_co_u32_e64 v16, s[4:5], v35, v22, s[4:5]
	v_max_u32_e32 v18, v19, v17
	v_min_u32_e32 v17, v19, v17
	v_cndmask_b32_e32 v19, v18, v17, vcc
	v_cndmask_b32_e32 v17, v17, v18, vcc
	v_cvt_f64_u32_e32 v[19:20], v19
	v_cvt_f64_u32_e32 v[21:22], v17
	v_add_co_u32_e32 v17, vcc, v5, v23
	v_addc_co_u32_e32 v18, vcc, v35, v24, vcc
	flat_store_dwordx4 v[9:10], v[19:22]
	s_waitcnt vmcnt(0) lgkmcnt(0)
	s_barrier
	flat_load_dwordx2 v[19:20], v[15:16]
	flat_load_dwordx2 v[21:22], v[17:18] offset:32
	v_and_b32_e32 v23, 7, v6
	v_sub_u32_e32 v23, v7, v23
	v_mov_b32_e32 v24, v8
	v_lshlrev_b64 v[25:26], 3, v[23:24]
	v_ashrrev_i32_e32 v24, 31, v23
	v_lshlrev_b64 v[27:28], 3, v[23:24]
	s_waitcnt vmcnt(0) lgkmcnt(0)
	v_cvt_u32_f64_e32 v19, v[19:20]
	v_cvt_u32_f64_e32 v20, v[21:22]
	v_and_b32_e32 v21, 4, v6
	v_cmp_eq_u32_e32 vcc, 0, v21
	v_max_u32_e32 v22, v19, v20
	v_min_u32_e32 v19, v19, v20
	v_cndmask_b32_e32 v20, v22, v19, vcc
	v_cndmask_b32_e32 v21, v19, v22, vcc
	v_cvt_f64_u32_e32 v[19:20], v20
	v_cvt_f64_u32_e32 v[21:22], v21
	flat_store_dwordx2 v[15:16], v[19:20]
	flat_store_dwordx2 v[17:18], v[21:22] offset:32
	s_waitcnt vmcnt(0) lgkmcnt(0)
	s_barrier
	flat_load_dwordx2 v[19:20], v[11:12]
	flat_load_dwordx2 v[21:22], v[13:14] offset:16
	s_waitcnt vmcnt(0) lgkmcnt(0)
	v_cvt_u32_f64_e32 v19, v[19:20]
	v_cvt_u32_f64_e32 v20, v[21:22]
	v_max_u32_e32 v21, v19, v20
	v_min_u32_e32 v19, v19, v20
	v_cndmask_b32_e32 v20, v21, v19, vcc
	v_cndmask_b32_e32 v21, v19, v21, vcc
	v_cvt_f64_u32_e32 v[19:20], v20
	v_cvt_f64_u32_e32 v[21:22], v21
	flat_store_dwordx2 v[11:12], v[19:20]
	flat_store_dwordx2 v[13:14], v[21:22] offset:16
	s_waitcnt vmcnt(0) lgkmcnt(0)
	s_barrier
	flat_load_dwordx4 v[19:22], v[9:10]
	s_waitcnt vmcnt(0) lgkmcnt(0)
	v_cvt_u32_f64_e32 v23, v[19:20]
	v_cvt_u32_f64_e32 v21, v[21:22]
	v_add_co_u32_e64 v19, s[4:5], v5, v25
	v_addc_co_u32_e64 v20, s[4:5], v35, v26, s[4:5]
	v_max_u32_e32 v22, v23, v21
	v_min_u32_e32 v21, v23, v21
	v_cndmask_b32_e32 v23, v22, v21, vcc
	v_cndmask_b32_e32 v21, v21, v22, vcc
	v_cvt_f64_u32_e32 v[23:24], v23
	v_cvt_f64_u32_e32 v[25:26], v21
	v_add_co_u32_e32 v21, vcc, v5, v27
	v_addc_co_u32_e32 v22, vcc, v35, v28, vcc
	flat_store_dwordx4 v[9:10], v[23:26]
	s_waitcnt vmcnt(0) lgkmcnt(0)
	s_barrier
	flat_load_dwordx2 v[23:24], v[19:20]
	flat_load_dwordx2 v[25:26], v[21:22] offset:64
	v_and_b32_e32 v27, 15, v6
	v_sub_u32_e32 v27, v7, v27
	v_mov_b32_e32 v28, v8
	v_lshlrev_b64 v[29:30], 3, v[27:28]
	v_ashrrev_i32_e32 v28, 31, v27
	v_lshlrev_b64 v[31:32], 3, v[27:28]
	s_waitcnt vmcnt(0) lgkmcnt(0)
	v_cvt_u32_f64_e32 v23, v[23:24]
	v_cvt_u32_f64_e32 v24, v[25:26]
	v_and_b32_e32 v25, 8, v6
	v_cmp_eq_u32_e32 vcc, 0, v25
	v_max_u32_e32 v26, v23, v24
	v_min_u32_e32 v23, v23, v24
	v_cndmask_b32_e32 v24, v26, v23, vcc
	v_cndmask_b32_e32 v25, v23, v26, vcc
	v_cvt_f64_u32_e32 v[23:24], v24
	v_cvt_f64_u32_e32 v[25:26], v25
	flat_store_dwordx2 v[19:20], v[23:24]
	flat_store_dwordx2 v[21:22], v[25:26] offset:64
	s_waitcnt vmcnt(0) lgkmcnt(0)
	s_barrier
	flat_load_dwordx2 v[23:24], v[15:16]
	flat_load_dwordx2 v[25:26], v[17:18] offset:32
	s_waitcnt vmcnt(0) lgkmcnt(0)
	v_cvt_u32_f64_e32 v23, v[23:24]
	v_cvt_u32_f64_e32 v24, v[25:26]
	v_max_u32_e32 v25, v23, v24
	v_min_u32_e32 v23, v23, v24
	v_cndmask_b32_e32 v24, v25, v23, vcc
	v_cndmask_b32_e32 v25, v23, v25, vcc
	v_cvt_f64_u32_e32 v[23:24], v24
	v_cvt_f64_u32_e32 v[25:26], v25
	flat_store_dwordx2 v[15:16], v[23:24]
	flat_store_dwordx2 v[17:18], v[25:26] offset:32
	s_waitcnt vmcnt(0) lgkmcnt(0)
	s_barrier
	flat_load_dwordx2 v[23:24], v[11:12]
	flat_load_dwordx2 v[25:26], v[13:14] offset:16
	s_waitcnt vmcnt(0) lgkmcnt(0)
	v_cvt_u32_f64_e32 v23, v[23:24]
	v_cvt_u32_f64_e32 v24, v[25:26]
	v_max_u32_e32 v25, v23, v24
	v_min_u32_e32 v23, v23, v24
	v_cndmask_b32_e32 v24, v25, v23, vcc
	v_cndmask_b32_e32 v25, v23, v25, vcc
	v_cvt_f64_u32_e32 v[23:24], v24
	v_cvt_f64_u32_e32 v[25:26], v25
	flat_store_dwordx2 v[11:12], v[23:24]
	flat_store_dwordx2 v[13:14], v[25:26] offset:16
	s_waitcnt vmcnt(0) lgkmcnt(0)
	s_barrier
	flat_load_dwordx4 v[23:26], v[9:10]
	s_waitcnt vmcnt(0) lgkmcnt(0)
	v_cvt_u32_f64_e32 v27, v[23:24]
	v_cvt_u32_f64_e32 v25, v[25:26]
	v_add_co_u32_e64 v23, s[4:5], v5, v29
	v_addc_co_u32_e64 v24, s[4:5], v35, v30, s[4:5]
	v_max_u32_e32 v26, v27, v25
	v_min_u32_e32 v25, v27, v25
	v_cndmask_b32_e32 v27, v26, v25, vcc
	v_cndmask_b32_e32 v25, v25, v26, vcc
	v_cvt_f64_u32_e32 v[27:28], v27
	v_cvt_f64_u32_e32 v[29:30], v25
	v_add_co_u32_e32 v25, vcc, v5, v31
	v_addc_co_u32_e32 v26, vcc, v35, v32, vcc
	flat_store_dwordx4 v[9:10], v[27:30]
	s_waitcnt vmcnt(0) lgkmcnt(0)
	s_barrier
	flat_load_dwordx2 v[27:28], v[23:24]
	flat_load_dwordx2 v[29:30], v[25:26] offset:128
	v_and_b32_e32 v31, 31, v6
	v_sub_u32_e32 v31, v7, v31
	v_mov_b32_e32 v32, v8
	v_lshlrev_b64 v[33:34], 3, v[31:32]
	v_ashrrev_i32_e32 v32, 31, v31
	v_lshlrev_b64 v[36:37], 3, v[31:32]
	s_waitcnt vmcnt(0) lgkmcnt(0)
	v_cvt_u32_f64_e32 v27, v[27:28]
	v_cvt_u32_f64_e32 v28, v[29:30]
	v_and_b32_e32 v29, 16, v6
	v_cmp_eq_u32_e32 vcc, 0, v29
	v_max_u32_e32 v30, v27, v28
	v_min_u32_e32 v27, v27, v28
	v_cndmask_b32_e32 v28, v30, v27, vcc
	v_cndmask_b32_e32 v29, v27, v30, vcc
	v_cvt_f64_u32_e32 v[27:28], v28
	v_cvt_f64_u32_e32 v[29:30], v29
	flat_store_dwordx2 v[23:24], v[27:28]
	flat_store_dwordx2 v[25:26], v[29:30] offset:128
	s_waitcnt vmcnt(0) lgkmcnt(0)
	s_barrier
	flat_load_dwordx2 v[27:28], v[19:20]
	flat_load_dwordx2 v[29:30], v[21:22] offset:64
	s_waitcnt vmcnt(0) lgkmcnt(0)
	v_cvt_u32_f64_e32 v27, v[27:28]
	v_cvt_u32_f64_e32 v28, v[29:30]
	v_max_u32_e32 v29, v27, v28
	v_min_u32_e32 v27, v27, v28
	v_cndmask_b32_e32 v28, v29, v27, vcc
	v_cndmask_b32_e32 v29, v27, v29, vcc
	v_cvt_f64_u32_e32 v[27:28], v28
	v_cvt_f64_u32_e32 v[29:30], v29
	flat_store_dwordx2 v[19:20], v[27:28]
	flat_store_dwordx2 v[21:22], v[29:30] offset:64
	s_waitcnt vmcnt(0) lgkmcnt(0)
	s_barrier
	flat_load_dwordx2 v[27:28], v[15:16]
	flat_load_dwordx2 v[29:30], v[17:18] offset:32
	s_waitcnt vmcnt(0) lgkmcnt(0)
	v_cvt_u32_f64_e32 v27, v[27:28]
	v_cvt_u32_f64_e32 v28, v[29:30]
	;; [unrolled: 15-line block ×3, first 2 shown]
	v_max_u32_e32 v29, v27, v28
	v_min_u32_e32 v27, v27, v28
	v_cndmask_b32_e32 v28, v29, v27, vcc
	v_cndmask_b32_e32 v29, v27, v29, vcc
	v_cvt_f64_u32_e32 v[27:28], v28
	v_cvt_f64_u32_e32 v[29:30], v29
	flat_store_dwordx2 v[11:12], v[27:28]
	flat_store_dwordx2 v[13:14], v[29:30] offset:16
	s_waitcnt vmcnt(0) lgkmcnt(0)
	s_barrier
	flat_load_dwordx4 v[27:30], v[9:10]
	s_waitcnt vmcnt(0) lgkmcnt(0)
	v_cvt_u32_f64_e32 v31, v[27:28]
	v_cvt_u32_f64_e32 v29, v[29:30]
	v_add_co_u32_e64 v27, s[4:5], v5, v33
	v_addc_co_u32_e64 v28, s[4:5], v35, v34, s[4:5]
	v_max_u32_e32 v30, v31, v29
	v_min_u32_e32 v29, v31, v29
	v_cndmask_b32_e32 v31, v30, v29, vcc
	v_cndmask_b32_e32 v29, v29, v30, vcc
	v_cvt_f64_u32_e32 v[31:32], v31
	v_cvt_f64_u32_e32 v[33:34], v29
	v_add_co_u32_e32 v29, vcc, v5, v36
	v_addc_co_u32_e32 v30, vcc, v35, v37, vcc
	flat_store_dwordx4 v[9:10], v[31:34]
	s_waitcnt vmcnt(0) lgkmcnt(0)
	s_barrier
	flat_load_dwordx2 v[31:32], v[27:28]
	flat_load_dwordx2 v[33:34], v[29:30] offset:256
	v_and_b32_e32 v36, 63, v6
	v_sub_u32_e32 v36, v7, v36
	v_mov_b32_e32 v37, v8
	v_lshlrev_b64 v[38:39], 3, v[36:37]
	v_ashrrev_i32_e32 v37, 31, v36
	v_lshlrev_b64 v[48:49], 3, v[36:37]
	s_waitcnt vmcnt(0) lgkmcnt(0)
	v_cvt_u32_f64_e32 v31, v[31:32]
	v_cvt_u32_f64_e32 v32, v[33:34]
	v_and_b32_e32 v33, 32, v6
	v_cmp_eq_u32_e32 vcc, 0, v33
	v_max_u32_e32 v34, v31, v32
	v_min_u32_e32 v31, v31, v32
	v_cndmask_b32_e32 v32, v34, v31, vcc
	v_cndmask_b32_e32 v33, v31, v34, vcc
	v_cvt_f64_u32_e32 v[31:32], v32
	v_cvt_f64_u32_e32 v[33:34], v33
	flat_store_dwordx2 v[27:28], v[31:32]
	flat_store_dwordx2 v[29:30], v[33:34] offset:256
	s_waitcnt vmcnt(0) lgkmcnt(0)
	s_barrier
	flat_load_dwordx2 v[31:32], v[23:24]
	flat_load_dwordx2 v[33:34], v[25:26] offset:128
	s_waitcnt vmcnt(0) lgkmcnt(0)
	v_cvt_u32_f64_e32 v31, v[31:32]
	v_cvt_u32_f64_e32 v32, v[33:34]
	v_max_u32_e32 v33, v31, v32
	v_min_u32_e32 v31, v31, v32
	v_cndmask_b32_e32 v32, v33, v31, vcc
	v_cndmask_b32_e32 v33, v31, v33, vcc
	v_cvt_f64_u32_e32 v[31:32], v32
	v_cvt_f64_u32_e32 v[33:34], v33
	flat_store_dwordx2 v[23:24], v[31:32]
	flat_store_dwordx2 v[25:26], v[33:34] offset:128
	s_waitcnt vmcnt(0) lgkmcnt(0)
	s_barrier
	flat_load_dwordx2 v[31:32], v[19:20]
	flat_load_dwordx2 v[33:34], v[21:22] offset:64
	s_waitcnt vmcnt(0) lgkmcnt(0)
	v_cvt_u32_f64_e32 v31, v[31:32]
	v_cvt_u32_f64_e32 v32, v[33:34]
	;; [unrolled: 15-line block ×4, first 2 shown]
	v_max_u32_e32 v33, v31, v32
	v_min_u32_e32 v31, v31, v32
	v_cndmask_b32_e32 v32, v33, v31, vcc
	v_cndmask_b32_e32 v33, v31, v33, vcc
	v_cvt_f64_u32_e32 v[31:32], v32
	v_cvt_f64_u32_e32 v[33:34], v33
	flat_store_dwordx2 v[11:12], v[31:32]
	flat_store_dwordx2 v[13:14], v[33:34] offset:16
	s_waitcnt vmcnt(0) lgkmcnt(0)
	s_barrier
	flat_load_dwordx4 v[31:34], v[9:10]
	s_waitcnt vmcnt(0) lgkmcnt(0)
	v_cvt_u32_f64_e32 v36, v[31:32]
	v_cvt_u32_f64_e32 v33, v[33:34]
	v_add_co_u32_e64 v31, s[4:5], v5, v38
	v_addc_co_u32_e64 v32, s[4:5], v35, v39, s[4:5]
	v_max_u32_e32 v34, v36, v33
	v_min_u32_e32 v33, v36, v33
	v_cndmask_b32_e32 v36, v34, v33, vcc
	v_cndmask_b32_e32 v33, v33, v34, vcc
	v_cvt_f64_u32_e32 v[36:37], v36
	v_cvt_f64_u32_e32 v[38:39], v33
	v_add_co_u32_e32 v33, vcc, v5, v48
	v_addc_co_u32_e32 v34, vcc, v35, v49, vcc
	flat_store_dwordx4 v[9:10], v[36:39]
	s_waitcnt vmcnt(0) lgkmcnt(0)
	s_barrier
	flat_load_dwordx2 v[36:37], v[31:32]
	flat_load_dwordx2 v[38:39], v[33:34] offset:512
	v_and_b32_e32 v48, 0x7f, v6
	v_sub_u32_e32 v7, v7, v48
	v_lshlrev_b64 v[48:49], 3, v[7:8]
	v_ashrrev_i32_e32 v51, 31, v7
	v_mov_b32_e32 v50, v7
	v_lshlrev_b64 v[50:51], 3, v[50:51]
	v_add_co_u32_e64 v48, s[4:5], v5, v48
	v_addc_co_u32_e64 v49, s[4:5], v35, v49, s[4:5]
	s_movk_i32 s4, 0x100
	s_waitcnt vmcnt(0) lgkmcnt(0)
	v_cvt_u32_f64_e32 v36, v[36:37]
	v_cvt_u32_f64_e32 v37, v[38:39]
	v_and_b32_e32 v38, 64, v6
	v_cmp_eq_u32_e32 vcc, 0, v38
	v_max_u32_e32 v39, v36, v37
	v_min_u32_e32 v36, v36, v37
	v_cndmask_b32_e32 v37, v39, v36, vcc
	v_cndmask_b32_e32 v38, v36, v39, vcc
	v_cvt_f64_u32_e32 v[36:37], v37
	v_cvt_f64_u32_e32 v[38:39], v38
	flat_store_dwordx2 v[31:32], v[36:37]
	flat_store_dwordx2 v[33:34], v[38:39] offset:512
	s_waitcnt vmcnt(0) lgkmcnt(0)
	s_barrier
	flat_load_dwordx2 v[36:37], v[27:28]
	flat_load_dwordx2 v[38:39], v[29:30] offset:256
	s_waitcnt vmcnt(0) lgkmcnt(0)
	v_cvt_u32_f64_e32 v36, v[36:37]
	v_cvt_u32_f64_e32 v37, v[38:39]
	v_max_u32_e32 v38, v36, v37
	v_min_u32_e32 v36, v36, v37
	v_cndmask_b32_e32 v37, v38, v36, vcc
	v_cndmask_b32_e32 v38, v36, v38, vcc
	v_cvt_f64_u32_e32 v[36:37], v37
	v_cvt_f64_u32_e32 v[38:39], v38
	flat_store_dwordx2 v[27:28], v[36:37]
	flat_store_dwordx2 v[29:30], v[38:39] offset:256
	s_waitcnt vmcnt(0) lgkmcnt(0)
	s_barrier
	flat_load_dwordx2 v[36:37], v[23:24]
	flat_load_dwordx2 v[38:39], v[25:26] offset:128
	s_waitcnt vmcnt(0) lgkmcnt(0)
	v_cvt_u32_f64_e32 v36, v[36:37]
	v_cvt_u32_f64_e32 v37, v[38:39]
	v_max_u32_e32 v38, v36, v37
	v_min_u32_e32 v36, v36, v37
	v_cndmask_b32_e32 v37, v38, v36, vcc
	v_cndmask_b32_e32 v38, v36, v38, vcc
	v_cvt_f64_u32_e32 v[36:37], v37
	v_cvt_f64_u32_e32 v[38:39], v38
	flat_store_dwordx2 v[23:24], v[36:37]
	flat_store_dwordx2 v[25:26], v[38:39] offset:128
	s_waitcnt vmcnt(0) lgkmcnt(0)
	s_barrier
	flat_load_dwordx2 v[36:37], v[19:20]
	flat_load_dwordx2 v[38:39], v[21:22] offset:64
	s_waitcnt vmcnt(0) lgkmcnt(0)
	v_cvt_u32_f64_e32 v36, v[36:37]
	v_cvt_u32_f64_e32 v37, v[38:39]
	v_max_u32_e32 v38, v36, v37
	v_min_u32_e32 v36, v36, v37
	v_cndmask_b32_e32 v37, v38, v36, vcc
	v_cndmask_b32_e32 v38, v36, v38, vcc
	v_cvt_f64_u32_e32 v[36:37], v37
	v_cvt_f64_u32_e32 v[38:39], v38
	flat_store_dwordx2 v[19:20], v[36:37]
	flat_store_dwordx2 v[21:22], v[38:39] offset:64
	s_waitcnt vmcnt(0) lgkmcnt(0)
	s_barrier
	flat_load_dwordx2 v[36:37], v[15:16]
	flat_load_dwordx2 v[38:39], v[17:18] offset:32
	s_waitcnt vmcnt(0) lgkmcnt(0)
	v_cvt_u32_f64_e32 v36, v[36:37]
	v_cvt_u32_f64_e32 v37, v[38:39]
	v_max_u32_e32 v38, v36, v37
	v_min_u32_e32 v36, v36, v37
	v_cndmask_b32_e32 v37, v38, v36, vcc
	v_cndmask_b32_e32 v38, v36, v38, vcc
	v_cvt_f64_u32_e32 v[36:37], v37
	v_cvt_f64_u32_e32 v[38:39], v38
	flat_store_dwordx2 v[15:16], v[36:37]
	flat_store_dwordx2 v[17:18], v[38:39] offset:32
	s_waitcnt vmcnt(0) lgkmcnt(0)
	s_barrier
	flat_load_dwordx2 v[36:37], v[11:12]
	flat_load_dwordx2 v[38:39], v[13:14] offset:16
	s_waitcnt vmcnt(0) lgkmcnt(0)
	v_cvt_u32_f64_e32 v36, v[36:37]
	v_cvt_u32_f64_e32 v37, v[38:39]
	v_max_u32_e32 v38, v36, v37
	v_min_u32_e32 v36, v36, v37
	v_cndmask_b32_e32 v37, v38, v36, vcc
	v_cndmask_b32_e32 v38, v36, v38, vcc
	v_cvt_f64_u32_e32 v[36:37], v37
	v_cvt_f64_u32_e32 v[38:39], v38
	flat_store_dwordx2 v[11:12], v[36:37]
	flat_store_dwordx2 v[13:14], v[38:39] offset:16
	s_waitcnt vmcnt(0) lgkmcnt(0)
	s_barrier
	flat_load_dwordx4 v[36:39], v[9:10]
	s_waitcnt vmcnt(0) lgkmcnt(0)
	v_cvt_u32_f64_e32 v7, v[36:37]
	v_cvt_u32_f64_e32 v36, v[38:39]
	v_max_u32_e32 v37, v7, v36
	v_min_u32_e32 v7, v7, v36
	v_cndmask_b32_e32 v36, v37, v7, vcc
	v_cndmask_b32_e32 v7, v7, v37, vcc
	v_cvt_f64_u32_e32 v[36:37], v36
	v_cvt_f64_u32_e32 v[38:39], v7
	v_add_co_u32_e32 v50, vcc, v5, v50
	v_addc_co_u32_e32 v51, vcc, v35, v51, vcc
	flat_store_dwordx4 v[9:10], v[36:39]
	s_waitcnt vmcnt(0) lgkmcnt(0)
	s_barrier
	flat_load_dwordx2 v[35:36], v[48:49]
	flat_load_dwordx2 v[37:38], v[50:51] offset:1024
	v_cmp_gt_u32_e32 vcc, s4, v6
	s_waitcnt vmcnt(0) lgkmcnt(0)
	v_cvt_u32_f64_e32 v5, v[35:36]
	v_cvt_u32_f64_e32 v7, v[37:38]
	v_min_u32_e32 v35, v5, v7
	v_max_u32_e32 v5, v5, v7
	v_cvt_f64_u32_e32 v[35:36], v35
	v_cvt_f64_u32_e32 v[37:38], v5
	flat_store_dwordx2 v[48:49], v[35:36]
	flat_store_dwordx2 v[50:51], v[37:38] offset:1024
	s_waitcnt vmcnt(0) lgkmcnt(0)
	s_barrier
	flat_load_dwordx2 v[35:36], v[31:32]
	flat_load_dwordx2 v[37:38], v[33:34] offset:512
	s_waitcnt vmcnt(0) lgkmcnt(0)
	v_cvt_u32_f64_e32 v5, v[35:36]
	v_cvt_u32_f64_e32 v7, v[37:38]
	v_min_u32_e32 v35, v5, v7
	v_max_u32_e32 v5, v5, v7
	v_cvt_f64_u32_e32 v[35:36], v35
	v_cvt_f64_u32_e32 v[37:38], v5
	flat_store_dwordx2 v[31:32], v[35:36]
	flat_store_dwordx2 v[33:34], v[37:38] offset:512
	s_waitcnt vmcnt(0) lgkmcnt(0)
	s_barrier
	flat_load_dwordx2 v[31:32], v[27:28]
	flat_load_dwordx2 v[33:34], v[29:30] offset:256
	s_waitcnt vmcnt(0) lgkmcnt(0)
	v_cvt_u32_f64_e32 v5, v[31:32]
	v_cvt_u32_f64_e32 v7, v[33:34]
	v_min_u32_e32 v31, v5, v7
	v_max_u32_e32 v5, v5, v7
	v_cvt_f64_u32_e32 v[31:32], v31
	v_cvt_f64_u32_e32 v[33:34], v5
	flat_store_dwordx2 v[27:28], v[31:32]
	flat_store_dwordx2 v[29:30], v[33:34] offset:256
	s_waitcnt vmcnt(0) lgkmcnt(0)
	s_barrier
	flat_load_dwordx2 v[27:28], v[23:24]
	flat_load_dwordx2 v[29:30], v[25:26] offset:128
	s_waitcnt vmcnt(0) lgkmcnt(0)
	v_cvt_u32_f64_e32 v5, v[27:28]
	v_cvt_u32_f64_e32 v7, v[29:30]
	v_min_u32_e32 v27, v5, v7
	v_max_u32_e32 v5, v5, v7
	v_cvt_f64_u32_e32 v[27:28], v27
	v_cvt_f64_u32_e32 v[29:30], v5
	flat_store_dwordx2 v[23:24], v[27:28]
	flat_store_dwordx2 v[25:26], v[29:30] offset:128
	s_waitcnt vmcnt(0) lgkmcnt(0)
	s_barrier
	flat_load_dwordx2 v[23:24], v[19:20]
	flat_load_dwordx2 v[25:26], v[21:22] offset:64
	s_waitcnt vmcnt(0) lgkmcnt(0)
	v_cvt_u32_f64_e32 v5, v[23:24]
	v_cvt_u32_f64_e32 v7, v[25:26]
	v_min_u32_e32 v23, v5, v7
	v_max_u32_e32 v5, v5, v7
	v_cvt_f64_u32_e32 v[23:24], v23
	v_cvt_f64_u32_e32 v[25:26], v5
	flat_store_dwordx2 v[19:20], v[23:24]
	flat_store_dwordx2 v[21:22], v[25:26] offset:64
	s_waitcnt vmcnt(0) lgkmcnt(0)
	s_barrier
	flat_load_dwordx2 v[19:20], v[15:16]
	flat_load_dwordx2 v[21:22], v[17:18] offset:32
	s_waitcnt vmcnt(0) lgkmcnt(0)
	v_cvt_u32_f64_e32 v5, v[19:20]
	v_cvt_u32_f64_e32 v7, v[21:22]
	v_min_u32_e32 v19, v5, v7
	v_max_u32_e32 v5, v5, v7
	v_cvt_f64_u32_e32 v[19:20], v19
	v_cvt_f64_u32_e32 v[21:22], v5
	flat_store_dwordx2 v[15:16], v[19:20]
	flat_store_dwordx2 v[17:18], v[21:22] offset:32
	s_waitcnt vmcnt(0) lgkmcnt(0)
	s_barrier
	flat_load_dwordx2 v[15:16], v[11:12]
	flat_load_dwordx2 v[17:18], v[13:14] offset:16
	s_waitcnt vmcnt(0) lgkmcnt(0)
	v_cvt_u32_f64_e32 v5, v[15:16]
	v_cvt_u32_f64_e32 v7, v[17:18]
	v_min_u32_e32 v15, v5, v7
	v_max_u32_e32 v5, v5, v7
	v_cvt_f64_u32_e32 v[15:16], v15
	v_cvt_f64_u32_e32 v[17:18], v5
	flat_store_dwordx2 v[11:12], v[15:16]
	flat_store_dwordx2 v[13:14], v[17:18] offset:16
	s_waitcnt vmcnt(0) lgkmcnt(0)
	s_barrier
	flat_load_dwordx4 v[11:14], v[9:10]
	s_waitcnt vmcnt(0) lgkmcnt(0)
	v_cvt_u32_f64_e32 v5, v[11:12]
	v_cvt_u32_f64_e32 v7, v[13:14]
	v_min_u32_e32 v11, v5, v7
	v_max_u32_e32 v5, v5, v7
	v_cvt_f64_u32_e32 v[11:12], v11
	v_cvt_f64_u32_e32 v[13:14], v5
	flat_store_dwordx4 v[9:10], v[11:14]
	s_waitcnt vmcnt(0) lgkmcnt(0)
	s_barrier
	s_and_saveexec_b64 s[4:5], vcc
	s_cbranch_execz .LBB7_21
; %bb.19:
	s_mov_b64 s[8:9], 0
.LBB7_20:                               ; =>This Inner Loop Header: Depth=1
	v_add_u32_e32 v7, v4, v6
	v_lshlrev_b64 v[9:10], 3, v[7:8]
	v_add_u32_e32 v5, 0x80, v6
	v_add_co_u32_e32 v11, vcc, v0, v9
	v_addc_co_u32_e32 v12, vcc, v1, v10, vcc
	flat_load_dwordx2 v[11:12], v[11:12]
	v_cmp_lt_u32_e32 vcc, s10, v6
	s_or_b64 s[8:9], vcc, s[8:9]
	v_add_co_u32_e32 v9, vcc, v2, v9
	v_mov_b32_e32 v6, v5
	v_addc_co_u32_e32 v10, vcc, v3, v10, vcc
	s_waitcnt vmcnt(0) lgkmcnt(0)
	flat_store_dwordx2 v[9:10], v[11:12]
	s_andn2_b64 exec, exec, s[8:9]
	s_cbranch_execnz .LBB7_20
.LBB7_21:
	s_or_b64 exec, exec, s[4:5]
	s_or_b64 exec, exec, s[6:7]
	s_waitcnt vmcnt(0) lgkmcnt(0)
	s_setpc_b64 s[30:31]
.Lfunc_end7:
	.size	_Z14sort_thresholdIdEvPT_S1_jjS1_j, .Lfunc_end7-_Z14sort_thresholdIdEvPT_S1_jjS1_j
                                        ; -- End function
	.set .L_Z14sort_thresholdIdEvPT_S1_jjS1_j.num_vgpr, 52
	.set .L_Z14sort_thresholdIdEvPT_S1_jjS1_j.num_agpr, 0
	.set .L_Z14sort_thresholdIdEvPT_S1_jjS1_j.numbered_sgpr, 32
	.set .L_Z14sort_thresholdIdEvPT_S1_jjS1_j.num_named_barrier, 0
	.set .L_Z14sort_thresholdIdEvPT_S1_jjS1_j.private_seg_size, 0
	.set .L_Z14sort_thresholdIdEvPT_S1_jjS1_j.uses_vcc, 1
	.set .L_Z14sort_thresholdIdEvPT_S1_jjS1_j.uses_flat_scratch, 0
	.set .L_Z14sort_thresholdIdEvPT_S1_jjS1_j.has_dyn_sized_stack, 0
	.set .L_Z14sort_thresholdIdEvPT_S1_jjS1_j.has_recursion, 0
	.set .L_Z14sort_thresholdIdEvPT_S1_jjS1_j.has_indirect_call, 0
	.section	.AMDGPU.csdata,"",@progbits
; Function info:
; codeLenInByte = 5884
; TotalNumSgprs: 36
; NumVgprs: 52
; ScratchSize: 0
; MemoryBound: 0
	.section	.text._Z13lqsort_kernelIdEvPT_S1_P11work_recordIS0_E,"axG",@progbits,_Z13lqsort_kernelIdEvPT_S1_P11work_recordIS0_E,comdat
	.protected	_Z13lqsort_kernelIdEvPT_S1_P11work_recordIS0_E ; -- Begin function _Z13lqsort_kernelIdEvPT_S1_P11work_recordIS0_E
	.globl	_Z13lqsort_kernelIdEvPT_S1_P11work_recordIS0_E
	.p2align	8
	.type	_Z13lqsort_kernelIdEvPT_S1_P11work_recordIS0_E,@function
_Z13lqsort_kernelIdEvPT_S1_P11work_recordIS0_E: ; @_Z13lqsort_kernelIdEvPT_S1_P11work_recordIS0_E
; %bb.0:
	s_mov_b64 s[16:17], s[4:5]
	s_load_dwordx2 s[4:5], s[4:5], 0x10
	s_add_u32 s0, s0, s7
	s_addc_u32 s1, s1, 0
	s_mul_hi_u32 s7, s6, 24
	s_mul_i32 s6, s6, 24
	s_load_dwordx4 s[40:43], s[16:17], 0x0
	s_waitcnt lgkmcnt(0)
	s_add_u32 s4, s4, s6
	v_mov_b32_e32 v42, v0
	s_addc_u32 s5, s5, s7
	v_mov_b32_e32 v0, 0
	global_load_dwordx2 v[45:46], v0, s[4:5]
	global_load_dword v3, v0, s[4:5] offset:16
	v_cmp_eq_u32_e64 s[18:19], 0, v42
	s_movk_i32 s32, 0x800
	s_waitcnt vmcnt(1)
	v_sub_u32_e32 v1, v46, v45
	s_and_saveexec_b64 s[4:5], s[18:19]
	s_cbranch_execz .LBB8_2
; %bb.1:
	v_mov_b32_e32 v2, 1
	ds_write_b32 v0, v0 offset:30212
	ds_write_b96 v0, v[0:2] offset:30752
.LBB8_2:
	s_or_b64 exec, exec, s[4:5]
	s_waitcnt vmcnt(0)
	v_cmp_eq_u32_e32 vcc, 1, v3
	v_cmp_lt_u32_e64 s[4:5], v42, v1
	s_mov_b64 s[6:7], -1
	s_cbranch_vccnz .LBB8_7
; %bb.3:
	s_and_saveexec_b64 s[6:7], s[4:5]
	s_cbranch_execz .LBB8_6
; %bb.4:
	v_lshlrev_b32_e32 v0, 3, v42
	s_mov_b64 s[8:9], 0
	v_mov_b32_e32 v3, 0
	v_mov_b32_e32 v4, s43
	;; [unrolled: 1-line block ×3, first 2 shown]
.LBB8_5:                                ; =>This Inner Loop Header: Depth=1
	v_add_u32_e32 v2, v45, v5
	v_lshlrev_b64 v[6:7], 3, v[2:3]
	v_add_u32_e32 v5, 0x80, v5
	v_add_co_u32_e32 v6, vcc, s42, v6
	v_addc_co_u32_e32 v7, vcc, v4, v7, vcc
	global_load_dwordx2 v[6:7], v[6:7], off
	v_cmp_ge_u32_e32 vcc, v5, v1
	s_or_b64 s[8:9], vcc, s[8:9]
	s_waitcnt vmcnt(0)
	ds_write_b64 v0, v[6:7]
	v_add_u32_e32 v0, 0x400, v0
	s_andn2_b64 exec, exec, s[8:9]
	s_cbranch_execnz .LBB8_5
.LBB8_6:
	s_or_b64 exec, exec, s[6:7]
	s_mov_b64 s[6:7], 0
.LBB8_7:
	s_andn2_b64 vcc, exec, s[6:7]
	s_cbranch_vccnz .LBB8_12
; %bb.8:
	s_and_saveexec_b64 s[6:7], s[4:5]
	s_cbranch_execz .LBB8_11
; %bb.9:
	v_lshlrev_b32_e32 v0, 3, v42
	s_mov_b64 s[4:5], 0
	v_mov_b32_e32 v3, 0
	v_mov_b32_e32 v4, s41
	;; [unrolled: 1-line block ×3, first 2 shown]
.LBB8_10:                               ; =>This Inner Loop Header: Depth=1
	v_add_u32_e32 v2, v45, v5
	v_lshlrev_b64 v[6:7], 3, v[2:3]
	v_add_u32_e32 v5, 0x80, v5
	v_add_co_u32_e32 v6, vcc, s40, v6
	v_addc_co_u32_e32 v7, vcc, v4, v7, vcc
	global_load_dwordx2 v[6:7], v[6:7], off
	v_cmp_ge_u32_e32 vcc, v5, v1
	s_or_b64 s[4:5], vcc, s[4:5]
	s_waitcnt vmcnt(0)
	ds_write_b64 v0, v[6:7]
	v_add_u32_e32 v0, 0x400, v0
	s_andn2_b64 exec, exec, s[4:5]
	s_cbranch_execnz .LBB8_10
.LBB8_11:
	s_or_b64 exec, exec, s[6:7]
.LBB8_12:
	v_mov_b32_e32 v47, 0
	s_waitcnt lgkmcnt(0)
	s_barrier
	ds_read_b32 v0, v47 offset:30212
	s_waitcnt lgkmcnt(0)
	v_cmp_gt_i32_e32 vcc, 0, v0
	s_cbranch_vccnz .LBB8_75
; %bb.13:
	v_mov_b32_e32 v46, v47
	v_lshlrev_b64 v[1:2], 3, v[45:46]
	v_mov_b32_e32 v4, s41
	v_add_co_u32_e32 v1, vcc, s40, v1
	buffer_store_dword v1, off, s[0:3], 0   ; 4-byte Folded Spill
	v_addc_co_u32_e32 v1, vcc, v4, v2, vcc
	v_lshlrev_b32_e32 v3, 2, v42
	buffer_store_dword v1, off, s[0:3], 0 offset:4 ; 4-byte Folded Spill
	v_and_b32_e32 v1, 1, v42
	v_cmp_eq_u32_e64 s[20:21], 1, v1
	v_add_u32_e32 v1, 0x760c, v3
	buffer_store_dword v1, off, s[0:3], 0 offset:8 ; 4-byte Folded Spill
	v_add_u32_e32 v1, 0x73fc, v3
	buffer_store_dword v1, off, s[0:3], 0 offset:12 ; 4-byte Folded Spill
	v_and_b32_e32 v1, 3, v42
	v_cmp_eq_u32_e64 s[22:23], 3, v1
	v_add_u32_e32 v1, 0x7608, v3
	buffer_store_dword v1, off, s[0:3], 0 offset:16 ; 4-byte Folded Spill
	v_add_u32_e32 v1, 0x73f8, v3
	buffer_store_dword v1, off, s[0:3], 0 offset:20 ; 4-byte Folded Spill
	v_and_b32_e32 v1, 7, v42
	v_cmp_eq_u32_e64 s[24:25], 7, v1
	v_and_b32_e32 v1, 15, v42
	v_cmp_eq_u32_e64 s[26:27], 15, v1
	;; [unrolled: 2-line block ×3, first 2 shown]
	v_and_b32_e32 v1, 63, v42
	s_movk_i32 s4, 0x7400
	s_movk_i32 s5, 0x7600
	v_cmp_eq_u32_e64 s[34:35], 63, v1
	s_movk_i32 s6, 0x7f
	v_and_b32_e32 v1, 0x7f, v42
	s_mov_b64 s[38:39], src_shared_base
	v_add_u32_e32 v52, 0x7400, v3
	v_add_u32_e32 v53, 0x7610, v3
	v_add_u32_e32 v58, 0x7600, v3
	v_add_u32_e32 v59, 0x73f0, v3
	v_add_u32_e32 v60, 0x75f0, v3
	v_add_u32_e32 v61, 0x73e0, v3
	v_add_u32_e32 v62, 0x75d0, v3
	v_add_u32_e32 v63, 0x73c0, v3
	v_add_u32_e32 v43, 0x7590, v3
	v_add_u32_e32 v44, 0x7380, v3
	v_cmp_eq_u32_e64 s[36:37], s6, v1
	v_add_u32_e32 v54, 0x7510, v3
	v_add_u32_e32 v55, 0x7300, v3
	s_movk_i32 s15, 0x100
	v_add_u32_e64 v1, s5, 0
	v_add_u32_e64 v56, s4, 0
	s_movk_i32 s33, 0x7800
	buffer_store_dword v1, off, s[0:3], 0 offset:24 ; 4-byte Folded Spill
	s_branch .LBB8_15
.LBB8_14:                               ;   in Loop: Header=BB8_15 Depth=1
	ds_read_b32 v0, v47 offset:30212
	s_waitcnt lgkmcnt(0)
	v_cmp_lt_i32_e32 vcc, -1, v0
	s_cbranch_vccz .LBB8_75
.LBB8_15:                               ; =>This Loop Header: Depth=1
                                        ;     Child Loop BB8_21 Depth 2
                                        ;     Child Loop BB8_56 Depth 2
	;; [unrolled: 1-line block ×3, first 2 shown]
	v_mul_lo_u32 v0, v0, 12
	v_add_u32_e32 v1, 0x7820, v0
	ds_read2_b32 v[40:41], v1 offset1:1
	ds_read_b32 v57, v0 offset:30760
	s_waitcnt vmcnt(0) lgkmcnt(0)
	s_barrier
	s_and_saveexec_b64 s[4:5], s[18:19]
	s_cbranch_execz .LBB8_17
; %bb.16:                               ;   in Loop: Header=BB8_15 Depth=1
	buffer_load_dword v1, off, s[0:3], 0 offset:24 ; 4-byte Folded Reload
	ds_read_b32 v0, v47 offset:30212
	s_waitcnt lgkmcnt(0)
	v_add_u32_e32 v0, -1, v0
	s_waitcnt vmcnt(0)
	ds_write2_b32 v1, v0, v47 offset0:1 offset1:133
	ds_write_b32 v47, v47 offset:30824
.LBB8_17:                               ;   in Loop: Header=BB8_15 Depth=1
	s_or_b64 exec, exec, s[4:5]
	v_cmp_eq_u32_e32 vcc, 1, v57
	v_mov_b32_e32 v2, 0x3600
	v_cndmask_b32_e64 v0, v2, 0, vcc
	v_mov_b32_e32 v1, s39
	v_cndmask_b32_e32 v2, 0, v2, vcc
	v_mov_b32_e32 v3, s39
	ds_write2_b64 v56, v[0:1], v[2:3] offset0:65 offset1:131
	ds_write_b32 v52, v47
	ds_write_b32 v53, v47
	s_waitcnt lgkmcnt(0)
	s_barrier
	ds_read_b64 v[0:1], v47 offset:30216
	v_mov_b32_e32 v46, v40
	v_lshlrev_b64 v[2:3], 3, v[46:47]
	s_waitcnt lgkmcnt(0)
	v_add_co_u32_e32 v2, vcc, v0, v2
	v_addc_co_u32_e32 v3, vcc, v1, v3, vcc
	flat_load_dwordx2 v[2:3], v[2:3]
	v_cmp_ge_u32_e32 vcc, v40, v41
	s_waitcnt vmcnt(0) lgkmcnt(0)
	v_cvt_u32_f64_e32 v10, v[2:3]
	s_cbranch_vccnz .LBB8_19
; %bb.18:                               ;   in Loop: Header=BB8_15 Depth=1
	v_add_u32_e32 v2, v41, v40
	v_lshrrev_b32_e32 v46, 1, v2
	v_lshlrev_b64 v[2:3], 3, v[46:47]
	v_add_u32_e32 v46, -1, v41
	v_add_co_u32_e32 v2, vcc, v0, v2
	v_lshlrev_b64 v[4:5], 3, v[46:47]
	v_addc_co_u32_e32 v3, vcc, v1, v3, vcc
	v_add_co_u32_e32 v4, vcc, v0, v4
	flat_load_dwordx2 v[2:3], v[2:3]
	v_addc_co_u32_e32 v5, vcc, v1, v5, vcc
	flat_load_dwordx2 v[4:5], v[4:5]
	s_waitcnt vmcnt(0) lgkmcnt(0)
	v_cvt_u32_f64_e32 v2, v[2:3]
	v_cvt_u32_f64_e32 v3, v[4:5]
	v_max_u32_e32 v4, v10, v2
	v_min_u32_e32 v2, v10, v2
	v_max_u32_e32 v2, v2, v3
	v_cmp_lt_u32_e32 vcc, v4, v3
	v_cndmask_b32_e32 v10, v2, v4, vcc
.LBB8_19:                               ;   in Loop: Header=BB8_15 Depth=1
	v_add_u32_e32 v11, v40, v42
	v_cmp_lt_u32_e32 vcc, v11, v41
	v_mov_b32_e32 v2, 0
	v_mov_b32_e32 v3, 0
	s_and_saveexec_b64 s[6:7], vcc
	s_cbranch_execz .LBB8_23
; %bb.20:                               ;   in Loop: Header=BB8_15 Depth=1
	v_mov_b32_e32 v2, 0
	s_mov_b64 s[8:9], 0
	v_mov_b32_e32 v46, v11
	v_mov_b32_e32 v3, 0
.LBB8_21:                               ;   Parent Loop BB8_15 Depth=1
                                        ; =>  This Inner Loop Header: Depth=2
	v_lshlrev_b64 v[4:5], 3, v[46:47]
	v_add_u32_e32 v46, 0x80, v46
	v_add_co_u32_e64 v4, s[4:5], v0, v4
	v_addc_co_u32_e64 v5, s[4:5], v1, v5, s[4:5]
	flat_load_dwordx2 v[4:5], v[4:5]
	v_cmp_ge_u32_e64 s[4:5], v46, v41
	s_or_b64 s[8:9], s[4:5], s[8:9]
	s_waitcnt vmcnt(0) lgkmcnt(0)
	v_cvt_u32_f64_e32 v4, v[4:5]
	v_cmp_gt_u32_e64 s[4:5], v10, v4
	v_addc_co_u32_e64 v2, s[4:5], 0, v2, s[4:5]
	v_cmp_lt_u32_e64 s[4:5], v10, v4
	v_addc_co_u32_e64 v3, s[4:5], 0, v3, s[4:5]
	s_andn2_b64 exec, exec, s[8:9]
	s_cbranch_execnz .LBB8_21
; %bb.22:                               ;   in Loop: Header=BB8_15 Depth=1
	s_or_b64 exec, exec, s[8:9]
.LBB8_23:                               ;   in Loop: Header=BB8_15 Depth=1
	s_or_b64 exec, exec, s[6:7]
	ds_write_b32 v53, v2
	ds_write_b32 v52, v3
	s_waitcnt lgkmcnt(0)
	s_barrier
	s_and_saveexec_b64 s[4:5], s[20:21]
	s_cbranch_execz .LBB8_25
; %bb.24:                               ;   in Loop: Header=BB8_15 Depth=1
	buffer_load_dword v0, off, s[0:3], 0 offset:8 ; 4-byte Folded Reload
	buffer_load_dword v2, off, s[0:3], 0 offset:12 ; 4-byte Folded Reload
	s_waitcnt vmcnt(1)
	ds_read2_b32 v[0:1], v0 offset1:1
	s_waitcnt vmcnt(0)
	ds_read2_b32 v[2:3], v2 offset1:1
	s_waitcnt lgkmcnt(1)
	v_add_u32_e32 v0, v1, v0
	s_waitcnt lgkmcnt(0)
	v_add_u32_e32 v1, v3, v2
	ds_write_b32 v53, v0
	ds_write_b32 v52, v1
.LBB8_25:                               ;   in Loop: Header=BB8_15 Depth=1
	s_or_b64 exec, exec, s[4:5]
	s_waitcnt lgkmcnt(0)
	s_barrier
	s_and_saveexec_b64 s[4:5], s[22:23]
	s_cbranch_execz .LBB8_27
; %bb.26:                               ;   in Loop: Header=BB8_15 Depth=1
	buffer_load_dword v0, off, s[0:3], 0 offset:16 ; 4-byte Folded Reload
	buffer_load_dword v1, off, s[0:3], 0 offset:20 ; 4-byte Folded Reload
	s_waitcnt vmcnt(1)
	ds_read_b32 v0, v0
	s_waitcnt vmcnt(0)
	ds_read_b32 v1, v1
	ds_read_b32 v2, v53
	;; [unrolled: 1-line block ×3, first 2 shown]
	s_waitcnt lgkmcnt(1)
	v_add_u32_e32 v0, v2, v0
	s_waitcnt lgkmcnt(0)
	v_add_u32_e32 v1, v3, v1
	ds_write_b32 v53, v0
	ds_write_b32 v52, v1
.LBB8_27:                               ;   in Loop: Header=BB8_15 Depth=1
	s_or_b64 exec, exec, s[4:5]
	s_waitcnt lgkmcnt(0)
	s_barrier
	s_and_saveexec_b64 s[4:5], s[24:25]
	s_cbranch_execz .LBB8_29
; %bb.28:                               ;   in Loop: Header=BB8_15 Depth=1
	ds_read_b32 v0, v58
	ds_read_b32 v1, v59
	ds_read_b32 v2, v53
	ds_read_b32 v3, v52
	s_waitcnt lgkmcnt(1)
	v_add_u32_e32 v0, v2, v0
	s_waitcnt lgkmcnt(0)
	v_add_u32_e32 v1, v3, v1
	ds_write_b32 v53, v0
	ds_write_b32 v52, v1
.LBB8_29:                               ;   in Loop: Header=BB8_15 Depth=1
	s_or_b64 exec, exec, s[4:5]
	s_waitcnt lgkmcnt(0)
	s_barrier
	s_and_saveexec_b64 s[4:5], s[26:27]
	s_cbranch_execz .LBB8_31
; %bb.30:                               ;   in Loop: Header=BB8_15 Depth=1
	ds_read_b32 v0, v60
	ds_read_b32 v1, v61
	ds_read_b32 v2, v53
	ds_read_b32 v3, v52
	s_waitcnt lgkmcnt(1)
	v_add_u32_e32 v0, v2, v0
	s_waitcnt lgkmcnt(0)
	v_add_u32_e32 v1, v3, v1
	ds_write_b32 v53, v0
	ds_write_b32 v52, v1
.LBB8_31:                               ;   in Loop: Header=BB8_15 Depth=1
	;; [unrolled: 17-line block ×5, first 2 shown]
	s_or_b64 exec, exec, s[4:5]
	s_waitcnt lgkmcnt(0)
	s_barrier
	s_and_saveexec_b64 s[4:5], s[36:37]
	s_cbranch_execz .LBB8_39
; %bb.38:                               ;   in Loop: Header=BB8_15 Depth=1
	ds_read_b32 v0, v53
	ds_read_b32 v1, v52
	s_waitcnt lgkmcnt(1)
	ds_write_b32 v47, v0 offset:30824
	s_waitcnt lgkmcnt(1)
	ds_write_b64 v47, v[0:1] offset:30736
	ds_write_b32 v47, v1 offset:30208
	ds_write_b32 v53, v47
	ds_write_b32 v52, v47
.LBB8_39:                               ;   in Loop: Header=BB8_15 Depth=1
	s_or_b64 exec, exec, s[4:5]
	s_and_saveexec_b64 s[4:5], s[36:37]
	s_cbranch_execz .LBB8_41
; %bb.40:                               ;   in Loop: Header=BB8_15 Depth=1
	ds_read_b32 v0, v55
	ds_read_b32 v1, v53
	ds_read_b32 v2, v54
	ds_read_b32 v3, v52
	s_waitcnt lgkmcnt(2)
	ds_write_b32 v54, v1
	s_waitcnt lgkmcnt(2)
	v_add_u32_e32 v1, v1, v2
	s_waitcnt lgkmcnt(1)
	v_add_u32_e32 v0, v3, v0
	ds_write_b32 v53, v1
	ds_write_b32 v55, v3
	ds_write_b32 v52, v0
.LBB8_41:                               ;   in Loop: Header=BB8_15 Depth=1
	s_or_b64 exec, exec, s[4:5]
	s_waitcnt lgkmcnt(0)
	s_barrier
	s_and_saveexec_b64 s[4:5], s[34:35]
	s_cbranch_execz .LBB8_43
; %bb.42:                               ;   in Loop: Header=BB8_15 Depth=1
	ds_read_b32 v0, v44
	ds_read_b32 v1, v53
	ds_read_b32 v2, v43
	ds_read_b32 v3, v52
	s_waitcnt lgkmcnt(2)
	ds_write_b32 v43, v1
	s_waitcnt lgkmcnt(2)
	v_add_u32_e32 v1, v1, v2
	s_waitcnt lgkmcnt(1)
	v_add_u32_e32 v0, v3, v0
	ds_write_b32 v53, v1
	ds_write_b32 v44, v3
	ds_write_b32 v52, v0
.LBB8_43:                               ;   in Loop: Header=BB8_15 Depth=1
	s_or_b64 exec, exec, s[4:5]
	s_waitcnt lgkmcnt(0)
	s_barrier
	;; [unrolled: 20-line block ×5, first 2 shown]
	s_and_saveexec_b64 s[4:5], s[22:23]
	s_cbranch_execz .LBB8_51
; %bb.50:                               ;   in Loop: Header=BB8_15 Depth=1
	buffer_load_dword v5, off, s[0:3], 0 offset:20 ; 4-byte Folded Reload
	s_waitcnt vmcnt(0)
	ds_read_b32 v0, v5
	ds_read_b32 v1, v53
	buffer_load_dword v4, off, s[0:3], 0 offset:16 ; 4-byte Folded Reload
	s_waitcnt vmcnt(0)
	ds_read_b32 v2, v4
	ds_read_b32 v3, v52
	s_waitcnt lgkmcnt(2)
	ds_write_b32 v4, v1
	s_waitcnt lgkmcnt(2)
	v_add_u32_e32 v1, v1, v2
	s_waitcnt lgkmcnt(1)
	v_add_u32_e32 v0, v3, v0
	ds_write_b32 v53, v1
	ds_write_b32 v5, v3
	;; [unrolled: 1-line block ×3, first 2 shown]
.LBB8_51:                               ;   in Loop: Header=BB8_15 Depth=1
	s_or_b64 exec, exec, s[4:5]
	s_waitcnt lgkmcnt(0)
	s_barrier
	s_and_saveexec_b64 s[4:5], s[20:21]
	s_cbranch_execz .LBB8_53
; %bb.52:                               ;   in Loop: Header=BB8_15 Depth=1
	buffer_load_dword v4, off, s[0:3], 0 offset:8 ; 4-byte Folded Reload
	buffer_load_dword v5, off, s[0:3], 0 offset:12 ; 4-byte Folded Reload
	s_waitcnt vmcnt(1)
	ds_read2_b32 v[0:1], v4 offset1:1
	s_waitcnt vmcnt(0)
	ds_read2_b32 v[2:3], v5 offset1:1
	s_waitcnt lgkmcnt(1)
	v_add_u32_e32 v0, v1, v0
	s_waitcnt lgkmcnt(0)
	v_add_u32_e32 v2, v3, v2
	ds_write2_b32 v4, v1, v0 offset1:1
	ds_write2_b32 v5, v3, v2 offset1:1
.LBB8_53:                               ;   in Loop: Header=BB8_15 Depth=1
	s_or_b64 exec, exec, s[4:5]
	s_waitcnt lgkmcnt(0)
	s_barrier
	s_and_saveexec_b64 s[4:5], vcc
	s_cbranch_execz .LBB8_60
; %bb.54:                               ;   in Loop: Header=BB8_15 Depth=1
	ds_read_b32 v4, v52 offset:4
	ds_read_b32 v5, v53
	ds_read2_b64 v[0:3], v56 offset0:65 offset1:131
	s_mov_b64 s[6:7], 0
	v_mov_b32_e32 v46, v11
	s_waitcnt lgkmcnt(2)
	v_sub_u32_e32 v4, v41, v4
	s_waitcnt lgkmcnt(1)
	v_add_u32_e32 v6, v5, v40
	s_branch .LBB8_56
.LBB8_55:                               ;   in Loop: Header=BB8_56 Depth=2
	s_or_b64 exec, exec, s[8:9]
	v_add_u32_e32 v46, 0x80, v46
	v_cmp_ge_u32_e32 vcc, v46, v41
	s_or_b64 s[6:7], vcc, s[6:7]
	s_andn2_b64 exec, exec, s[6:7]
	s_cbranch_execz .LBB8_60
.LBB8_56:                               ;   Parent Loop BB8_15 Depth=1
                                        ; =>  This Inner Loop Header: Depth=2
	v_lshlrev_b64 v[7:8], 3, v[46:47]
	s_waitcnt lgkmcnt(0)
	v_add_co_u32_e32 v7, vcc, v0, v7
	v_addc_co_u32_e32 v8, vcc, v1, v8, vcc
	flat_load_dwordx2 v[7:8], v[7:8]
	s_waitcnt vmcnt(0) lgkmcnt(0)
	v_cvt_u32_f64_e32 v5, v[7:8]
	v_cvt_f64_u32_e32 v[8:9], v5
	v_cmp_gt_u32_e32 vcc, v10, v5
	s_and_saveexec_b64 s[8:9], vcc
	s_cbranch_execz .LBB8_58
; %bb.57:                               ;   in Loop: Header=BB8_56 Depth=2
	v_mov_b32_e32 v7, v47
	v_add_u32_e32 v12, 1, v6
	v_lshlrev_b64 v[6:7], 3, v[6:7]
	v_add_co_u32_e32 v6, vcc, v2, v6
	v_addc_co_u32_e32 v7, vcc, v3, v7, vcc
	flat_store_dwordx2 v[6:7], v[8:9]
	v_mov_b32_e32 v6, v12
.LBB8_58:                               ;   in Loop: Header=BB8_56 Depth=2
	s_or_b64 exec, exec, s[8:9]
	v_cmp_lt_u32_e32 vcc, v10, v5
	s_and_saveexec_b64 s[8:9], vcc
	s_cbranch_execz .LBB8_55
; %bb.59:                               ;   in Loop: Header=BB8_56 Depth=2
	v_mov_b32_e32 v5, v47
	v_add_u32_e32 v7, 1, v4
	v_lshlrev_b64 v[4:5], 3, v[4:5]
	v_add_co_u32_e32 v4, vcc, v2, v4
	v_addc_co_u32_e32 v5, vcc, v3, v5, vcc
	flat_store_dwordx2 v[4:5], v[8:9]
	v_mov_b32_e32 v4, v7
	s_branch .LBB8_55
.LBB8_60:                               ;   in Loop: Header=BB8_15 Depth=1
	s_or_b64 exec, exec, s[4:5]
	v_add_u32_e64 v0, s33, 0
	s_waitcnt vmcnt(0) lgkmcnt(0)
	s_barrier
	ds_read2_b32 v[0:1], v0 offset0:5 offset1:26
	s_waitcnt lgkmcnt(0)
	v_add_u32_e32 v2, v11, v1
	v_sub_u32_e32 v3, v41, v0
	v_cmp_lt_u32_e32 vcc, v2, v3
	s_and_saveexec_b64 s[4:5], vcc
	s_cbranch_execz .LBB8_63
; %bb.61:                               ;   in Loop: Header=BB8_15 Depth=1
	v_cvt_f64_u32_e32 v[0:1], v10
	s_mov_b64 s[6:7], 0
.LBB8_62:                               ;   Parent Loop BB8_15 Depth=1
                                        ; =>  This Inner Loop Header: Depth=2
	v_add_u32_e32 v46, v45, v2
	v_add_u32_e32 v2, 0x80, v2
	v_lshlrev_b64 v[4:5], 3, v[46:47]
	v_cmp_ge_u32_e32 vcc, v2, v3
	v_mov_b32_e32 v6, s41
	s_or_b64 s[6:7], vcc, s[6:7]
	v_add_co_u32_e32 v4, vcc, s40, v4
	v_addc_co_u32_e32 v5, vcc, v6, v5, vcc
	global_store_dwordx2 v[4:5], v[0:1], off
	s_andn2_b64 exec, exec, s[6:7]
	s_cbranch_execnz .LBB8_62
.LBB8_63:                               ;   in Loop: Header=BB8_15 Depth=1
	s_or_b64 exec, exec, s[4:5]
	s_waitcnt vmcnt(0)
	s_barrier
	ds_read_b32 v2, v47 offset:30824
	s_mov_b64 s[4:5], -1
	s_waitcnt lgkmcnt(0)
	v_cmp_lt_u32_e32 vcc, s15, v2
	s_cbranch_vccz .LBB8_67
; %bb.64:                               ;   in Loop: Header=BB8_15 Depth=1
	s_and_saveexec_b64 s[4:5], s[18:19]
	s_cbranch_execz .LBB8_66
; %bb.65:                               ;   in Loop: Header=BB8_15 Depth=1
	ds_read_b32 v0, v47 offset:30212
	v_add_u32_e32 v1, v2, v40
	v_xor_b32_e32 v4, 1, v57
	s_waitcnt lgkmcnt(0)
	v_mul_lo_u32 v3, v0, 12
	v_add_u32_e32 v0, 1, v0
	ds_write_b32 v47, v0 offset:30212
	v_add_u32_e32 v0, 0x782c, v3
	ds_write2_b32 v0, v40, v1 offset1:1
	ds_write_b32 v3, v4 offset:30772
.LBB8_66:                               ;   in Loop: Header=BB8_15 Depth=1
	s_or_b64 exec, exec, s[4:5]
	s_mov_b64 s[4:5], 0
	s_waitcnt lgkmcnt(0)
	s_barrier
.LBB8_67:                               ;   in Loop: Header=BB8_15 Depth=1
	s_and_b64 vcc, exec, s[4:5]
	s_cbranch_vccz .LBB8_69
; %bb.68:                               ;   in Loop: Header=BB8_15 Depth=1
	ds_read_b64 v[0:1], v47 offset:30744
	v_add_u32_e32 v5, v2, v40
	buffer_load_dword v2, off, s[0:3], 0    ; 4-byte Folded Reload
	buffer_load_dword v3, off, s[0:3], 0 offset:4 ; 4-byte Folded Reload
	s_add_u32 s8, s16, 24
	s_addc_u32 s9, s17, 0
	s_getpc_b64 s[4:5]
	s_add_u32 s4, s4, _Z14sort_thresholdIdEvPT_S1_jjS1_j@rel32@lo+4
	s_addc_u32 s5, s5, _Z14sort_thresholdIdEvPT_S1_jjS1_j@rel32@hi+12
	v_mov_b32_e32 v4, v40
	v_mov_b32_e32 v6, v42
	s_swappc_b64 s[30:31], s[4:5]
.LBB8_69:                               ;   in Loop: Header=BB8_15 Depth=1
	ds_read_b32 v2, v47 offset:30740
	s_mov_b64 s[4:5], -1
	s_waitcnt lgkmcnt(0)
	v_cmp_lt_u32_e32 vcc, s15, v2
	s_cbranch_vccnz .LBB8_71
; %bb.70:                               ;   in Loop: Header=BB8_15 Depth=1
	s_and_b64 vcc, exec, s[4:5]
	s_cbranch_vccz .LBB8_14
	s_branch .LBB8_74
.LBB8_71:                               ;   in Loop: Header=BB8_15 Depth=1
	s_and_saveexec_b64 s[4:5], s[18:19]
	s_cbranch_execz .LBB8_73
; %bb.72:                               ;   in Loop: Header=BB8_15 Depth=1
	ds_read_b32 v0, v47 offset:30212
	v_sub_u32_e32 v1, v41, v2
	v_xor_b32_e32 v4, 1, v57
	s_waitcnt lgkmcnt(0)
	v_mul_lo_u32 v3, v0, 12
	v_add_u32_e32 v0, 1, v0
	ds_write_b32 v47, v0 offset:30212
	v_add_u32_e32 v0, 0x782c, v3
	ds_write2_b32 v0, v1, v41 offset1:1
	ds_write_b32 v3, v4 offset:30772
.LBB8_73:                               ;   in Loop: Header=BB8_15 Depth=1
	s_or_b64 exec, exec, s[4:5]
	s_waitcnt lgkmcnt(0)
	s_barrier
	s_branch .LBB8_14
.LBB8_74:                               ;   in Loop: Header=BB8_15 Depth=1
	ds_read_b64 v[0:1], v47 offset:30744
	v_sub_u32_e32 v4, v41, v2
	buffer_load_dword v2, off, s[0:3], 0    ; 4-byte Folded Reload
	buffer_load_dword v3, off, s[0:3], 0 offset:4 ; 4-byte Folded Reload
	s_add_u32 s8, s16, 24
	s_addc_u32 s9, s17, 0
	s_getpc_b64 s[4:5]
	s_add_u32 s4, s4, _Z14sort_thresholdIdEvPT_S1_jjS1_j@rel32@lo+4
	s_addc_u32 s5, s5, _Z14sort_thresholdIdEvPT_S1_jjS1_j@rel32@hi+12
	v_mov_b32_e32 v5, v41
	v_mov_b32_e32 v6, v42
	s_swappc_b64 s[30:31], s[4:5]
	s_branch .LBB8_14
.LBB8_75:
	s_endpgm
	.section	.rodata,"a",@progbits
	.p2align	6, 0x0
	.amdhsa_kernel _Z13lqsort_kernelIdEvPT_S1_P11work_recordIS0_E
		.amdhsa_group_segment_fixed_size 30832
		.amdhsa_private_segment_fixed_size 32
		.amdhsa_kernarg_size 280
		.amdhsa_user_sgpr_count 6
		.amdhsa_user_sgpr_private_segment_buffer 1
		.amdhsa_user_sgpr_dispatch_ptr 0
		.amdhsa_user_sgpr_queue_ptr 0
		.amdhsa_user_sgpr_kernarg_segment_ptr 1
		.amdhsa_user_sgpr_dispatch_id 0
		.amdhsa_user_sgpr_flat_scratch_init 0
		.amdhsa_user_sgpr_private_segment_size 0
		.amdhsa_uses_dynamic_stack 0
		.amdhsa_system_sgpr_private_segment_wavefront_offset 1
		.amdhsa_system_sgpr_workgroup_id_x 1
		.amdhsa_system_sgpr_workgroup_id_y 0
		.amdhsa_system_sgpr_workgroup_id_z 0
		.amdhsa_system_sgpr_workgroup_info 0
		.amdhsa_system_vgpr_workitem_id 0
		.amdhsa_next_free_vgpr 64
		.amdhsa_next_free_sgpr 61
		.amdhsa_reserve_vcc 1
		.amdhsa_reserve_flat_scratch 0
		.amdhsa_float_round_mode_32 0
		.amdhsa_float_round_mode_16_64 0
		.amdhsa_float_denorm_mode_32 3
		.amdhsa_float_denorm_mode_16_64 3
		.amdhsa_dx10_clamp 1
		.amdhsa_ieee_mode 1
		.amdhsa_fp16_overflow 0
		.amdhsa_exception_fp_ieee_invalid_op 0
		.amdhsa_exception_fp_denorm_src 0
		.amdhsa_exception_fp_ieee_div_zero 0
		.amdhsa_exception_fp_ieee_overflow 0
		.amdhsa_exception_fp_ieee_underflow 0
		.amdhsa_exception_fp_ieee_inexact 0
		.amdhsa_exception_int_div_zero 0
	.end_amdhsa_kernel
	.section	.text._Z13lqsort_kernelIdEvPT_S1_P11work_recordIS0_E,"axG",@progbits,_Z13lqsort_kernelIdEvPT_S1_P11work_recordIS0_E,comdat
.Lfunc_end8:
	.size	_Z13lqsort_kernelIdEvPT_S1_P11work_recordIS0_E, .Lfunc_end8-_Z13lqsort_kernelIdEvPT_S1_P11work_recordIS0_E
                                        ; -- End function
	.set _Z13lqsort_kernelIdEvPT_S1_P11work_recordIS0_E.num_vgpr, max(64, .L_Z14sort_thresholdIdEvPT_S1_jjS1_j.num_vgpr)
	.set _Z13lqsort_kernelIdEvPT_S1_P11work_recordIS0_E.num_agpr, max(0, .L_Z14sort_thresholdIdEvPT_S1_jjS1_j.num_agpr)
	.set _Z13lqsort_kernelIdEvPT_S1_P11work_recordIS0_E.numbered_sgpr, max(44, .L_Z14sort_thresholdIdEvPT_S1_jjS1_j.numbered_sgpr)
	.set _Z13lqsort_kernelIdEvPT_S1_P11work_recordIS0_E.num_named_barrier, max(0, .L_Z14sort_thresholdIdEvPT_S1_jjS1_j.num_named_barrier)
	.set _Z13lqsort_kernelIdEvPT_S1_P11work_recordIS0_E.private_seg_size, 32+max(.L_Z14sort_thresholdIdEvPT_S1_jjS1_j.private_seg_size)
	.set _Z13lqsort_kernelIdEvPT_S1_P11work_recordIS0_E.uses_vcc, or(1, .L_Z14sort_thresholdIdEvPT_S1_jjS1_j.uses_vcc)
	.set _Z13lqsort_kernelIdEvPT_S1_P11work_recordIS0_E.uses_flat_scratch, or(0, .L_Z14sort_thresholdIdEvPT_S1_jjS1_j.uses_flat_scratch)
	.set _Z13lqsort_kernelIdEvPT_S1_P11work_recordIS0_E.has_dyn_sized_stack, or(0, .L_Z14sort_thresholdIdEvPT_S1_jjS1_j.has_dyn_sized_stack)
	.set _Z13lqsort_kernelIdEvPT_S1_P11work_recordIS0_E.has_recursion, or(0, .L_Z14sort_thresholdIdEvPT_S1_jjS1_j.has_recursion)
	.set _Z13lqsort_kernelIdEvPT_S1_P11work_recordIS0_E.has_indirect_call, or(0, .L_Z14sort_thresholdIdEvPT_S1_jjS1_j.has_indirect_call)
	.section	.AMDGPU.csdata,"",@progbits
; Kernel info:
; codeLenInByte = 3428
; TotalNumSgprs: 48
; NumVgprs: 64
; ScratchSize: 32
; MemoryBound: 0
; FloatMode: 240
; IeeeMode: 1
; LDSByteSize: 30832 bytes/workgroup (compile time only)
; SGPRBlocks: 8
; VGPRBlocks: 15
; NumSGPRsForWavesPerEU: 65
; NumVGPRsForWavesPerEU: 64
; Occupancy: 4
; WaveLimiterHint : 1
; COMPUTE_PGM_RSRC2:SCRATCH_EN: 1
; COMPUTE_PGM_RSRC2:USER_SGPR: 6
; COMPUTE_PGM_RSRC2:TRAP_HANDLER: 0
; COMPUTE_PGM_RSRC2:TGID_X_EN: 1
; COMPUTE_PGM_RSRC2:TGID_Y_EN: 0
; COMPUTE_PGM_RSRC2:TGID_Z_EN: 0
; COMPUTE_PGM_RSRC2:TIDIG_COMP_CNT: 0
	.section	.AMDGPU.gpr_maximums,"",@progbits
	.set amdgpu.max_num_vgpr, 52
	.set amdgpu.max_num_agpr, 0
	.set amdgpu.max_num_sgpr, 32
	.section	.AMDGPU.csdata,"",@progbits
	.type	__hip_cuid_52c69142339e7f4d,@object ; @__hip_cuid_52c69142339e7f4d
	.section	.bss,"aw",@nobits
	.globl	__hip_cuid_52c69142339e7f4d
__hip_cuid_52c69142339e7f4d:
	.byte	0                               ; 0x0
	.size	__hip_cuid_52c69142339e7f4d, 1

	.ident	"AMD clang version 22.0.0git (https://github.com/RadeonOpenCompute/llvm-project roc-7.2.4 26084 f58b06dce1f9c15707c5f808fd002e18c2accf7e)"
	.section	".note.GNU-stack","",@progbits
	.addrsig
	.addrsig_sym __hip_cuid_52c69142339e7f4d
	.amdgpu_metadata
---
amdhsa.kernels:
  - .args:
      - .address_space:  global
        .offset:         0
        .size:           8
        .value_kind:     global_buffer
      - .address_space:  global
        .offset:         8
        .size:           8
        .value_kind:     global_buffer
      - .address_space:  global
        .offset:         16
        .size:           8
        .value_kind:     global_buffer
      - .address_space:  global
        .offset:         24
        .size:           8
        .value_kind:     global_buffer
      - .address_space:  global
        .offset:         32
        .size:           8
        .value_kind:     global_buffer
    .group_segment_fixed_size: 1048
    .kernarg_segment_align: 8
    .kernarg_segment_size: 40
    .language:       OpenCL C
    .language_version:
      - 2
      - 0
    .max_flat_workgroup_size: 1024
    .name:           _Z13gqsort_kernelIjEvPT_S1_P12block_recordIS0_EP13parent_recordP11work_recordIS0_E
    .private_segment_fixed_size: 0
    .sgpr_count:     39
    .sgpr_spill_count: 0
    .symbol:         _Z13gqsort_kernelIjEvPT_S1_P12block_recordIS0_EP13parent_recordP11work_recordIS0_E.kd
    .uniform_work_group_size: 1
    .uses_dynamic_stack: false
    .vgpr_count:     20
    .vgpr_spill_count: 0
    .wavefront_size: 64
  - .args:
      - .address_space:  global
        .offset:         0
        .size:           8
        .value_kind:     global_buffer
      - .address_space:  global
        .offset:         8
        .size:           8
        .value_kind:     global_buffer
      - .address_space:  global
        .offset:         16
        .size:           8
        .value_kind:     global_buffer
      - .offset:         24
        .size:           4
        .value_kind:     hidden_block_count_x
      - .offset:         28
        .size:           4
        .value_kind:     hidden_block_count_y
      - .offset:         32
        .size:           4
        .value_kind:     hidden_block_count_z
      - .offset:         36
        .size:           2
        .value_kind:     hidden_group_size_x
      - .offset:         38
        .size:           2
        .value_kind:     hidden_group_size_y
      - .offset:         40
        .size:           2
        .value_kind:     hidden_group_size_z
      - .offset:         42
        .size:           2
        .value_kind:     hidden_remainder_x
      - .offset:         44
        .size:           2
        .value_kind:     hidden_remainder_y
      - .offset:         46
        .size:           2
        .value_kind:     hidden_remainder_z
      - .offset:         64
        .size:           8
        .value_kind:     hidden_global_offset_x
      - .offset:         72
        .size:           8
        .value_kind:     hidden_global_offset_y
      - .offset:         80
        .size:           8
        .value_kind:     hidden_global_offset_z
      - .offset:         88
        .size:           2
        .value_kind:     hidden_grid_dims
    .group_segment_fixed_size: 15984
    .kernarg_segment_align: 8
    .kernarg_segment_size: 280
    .language:       OpenCL C
    .language_version:
      - 2
      - 0
    .max_flat_workgroup_size: 1024
    .name:           _Z13lqsort_kernelIjEvPT_S1_P11work_recordIS0_E
    .private_segment_fixed_size: 32
    .sgpr_count:     48
    .sgpr_spill_count: 0
    .symbol:         _Z13lqsort_kernelIjEvPT_S1_P11work_recordIS0_E.kd
    .uniform_work_group_size: 1
    .uses_dynamic_stack: false
    .vgpr_count:     64
    .vgpr_spill_count: 5
    .wavefront_size: 64
  - .args:
      - .address_space:  global
        .offset:         0
        .size:           8
        .value_kind:     global_buffer
      - .address_space:  global
        .offset:         8
        .size:           8
        .value_kind:     global_buffer
      - .address_space:  global
        .offset:         16
        .size:           8
        .value_kind:     global_buffer
      - .address_space:  global
        .offset:         24
        .size:           8
        .value_kind:     global_buffer
      - .address_space:  global
        .offset:         32
        .size:           8
        .value_kind:     global_buffer
    .group_segment_fixed_size: 1048
    .kernarg_segment_align: 8
    .kernarg_segment_size: 40
    .language:       OpenCL C
    .language_version:
      - 2
      - 0
    .max_flat_workgroup_size: 1024
    .name:           _Z13gqsort_kernelIfEvPT_S1_P12block_recordIS0_EP13parent_recordP11work_recordIS0_E
    .private_segment_fixed_size: 0
    .sgpr_count:     39
    .sgpr_spill_count: 0
    .symbol:         _Z13gqsort_kernelIfEvPT_S1_P12block_recordIS0_EP13parent_recordP11work_recordIS0_E.kd
    .uniform_work_group_size: 1
    .uses_dynamic_stack: false
    .vgpr_count:     20
    .vgpr_spill_count: 0
    .wavefront_size: 64
  - .args:
      - .address_space:  global
        .offset:         0
        .size:           8
        .value_kind:     global_buffer
      - .address_space:  global
        .offset:         8
        .size:           8
        .value_kind:     global_buffer
      - .address_space:  global
        .offset:         16
        .size:           8
        .value_kind:     global_buffer
      - .offset:         24
        .size:           4
        .value_kind:     hidden_block_count_x
      - .offset:         28
        .size:           4
        .value_kind:     hidden_block_count_y
      - .offset:         32
        .size:           4
        .value_kind:     hidden_block_count_z
      - .offset:         36
        .size:           2
        .value_kind:     hidden_group_size_x
      - .offset:         38
        .size:           2
        .value_kind:     hidden_group_size_y
      - .offset:         40
        .size:           2
        .value_kind:     hidden_group_size_z
      - .offset:         42
        .size:           2
        .value_kind:     hidden_remainder_x
      - .offset:         44
        .size:           2
        .value_kind:     hidden_remainder_y
      - .offset:         46
        .size:           2
        .value_kind:     hidden_remainder_z
      - .offset:         64
        .size:           8
        .value_kind:     hidden_global_offset_x
      - .offset:         72
        .size:           8
        .value_kind:     hidden_global_offset_y
      - .offset:         80
        .size:           8
        .value_kind:     hidden_global_offset_z
      - .offset:         88
        .size:           2
        .value_kind:     hidden_grid_dims
    .group_segment_fixed_size: 15984
    .kernarg_segment_align: 8
    .kernarg_segment_size: 280
    .language:       OpenCL C
    .language_version:
      - 2
      - 0
    .max_flat_workgroup_size: 1024
    .name:           _Z13lqsort_kernelIfEvPT_S1_P11work_recordIS0_E
    .private_segment_fixed_size: 32
    .sgpr_count:     48
    .sgpr_spill_count: 0
    .symbol:         _Z13lqsort_kernelIfEvPT_S1_P11work_recordIS0_E.kd
    .uniform_work_group_size: 1
    .uses_dynamic_stack: false
    .vgpr_count:     64
    .vgpr_spill_count: 6
    .wavefront_size: 64
  - .args:
      - .address_space:  global
        .offset:         0
        .size:           8
        .value_kind:     global_buffer
      - .address_space:  global
        .offset:         8
        .size:           8
        .value_kind:     global_buffer
      - .address_space:  global
        .offset:         16
        .size:           8
        .value_kind:     global_buffer
      - .address_space:  global
        .offset:         24
        .size:           8
        .value_kind:     global_buffer
      - .address_space:  global
        .offset:         32
        .size:           8
        .value_kind:     global_buffer
    .group_segment_fixed_size: 1048
    .kernarg_segment_align: 8
    .kernarg_segment_size: 40
    .language:       OpenCL C
    .language_version:
      - 2
      - 0
    .max_flat_workgroup_size: 1024
    .name:           _Z13gqsort_kernelIdEvPT_S1_P12block_recordIS0_EP13parent_recordP11work_recordIS0_E
    .private_segment_fixed_size: 0
    .sgpr_count:     40
    .sgpr_spill_count: 0
    .symbol:         _Z13gqsort_kernelIdEvPT_S1_P12block_recordIS0_EP13parent_recordP11work_recordIS0_E.kd
    .uniform_work_group_size: 1
    .uses_dynamic_stack: false
    .vgpr_count:     20
    .vgpr_spill_count: 0
    .wavefront_size: 64
  - .args:
      - .address_space:  global
        .offset:         0
        .size:           8
        .value_kind:     global_buffer
      - .address_space:  global
        .offset:         8
        .size:           8
        .value_kind:     global_buffer
      - .address_space:  global
        .offset:         16
        .size:           8
        .value_kind:     global_buffer
      - .offset:         24
        .size:           4
        .value_kind:     hidden_block_count_x
      - .offset:         28
        .size:           4
        .value_kind:     hidden_block_count_y
      - .offset:         32
        .size:           4
        .value_kind:     hidden_block_count_z
      - .offset:         36
        .size:           2
        .value_kind:     hidden_group_size_x
      - .offset:         38
        .size:           2
        .value_kind:     hidden_group_size_y
      - .offset:         40
        .size:           2
        .value_kind:     hidden_group_size_z
      - .offset:         42
        .size:           2
        .value_kind:     hidden_remainder_x
      - .offset:         44
        .size:           2
        .value_kind:     hidden_remainder_y
      - .offset:         46
        .size:           2
        .value_kind:     hidden_remainder_z
      - .offset:         64
        .size:           8
        .value_kind:     hidden_global_offset_x
      - .offset:         72
        .size:           8
        .value_kind:     hidden_global_offset_y
      - .offset:         80
        .size:           8
        .value_kind:     hidden_global_offset_z
      - .offset:         88
        .size:           2
        .value_kind:     hidden_grid_dims
    .group_segment_fixed_size: 30832
    .kernarg_segment_align: 8
    .kernarg_segment_size: 280
    .language:       OpenCL C
    .language_version:
      - 2
      - 0
    .max_flat_workgroup_size: 1024
    .name:           _Z13lqsort_kernelIdEvPT_S1_P11work_recordIS0_E
    .private_segment_fixed_size: 32
    .sgpr_count:     48
    .sgpr_spill_count: 0
    .symbol:         _Z13lqsort_kernelIdEvPT_S1_P11work_recordIS0_E.kd
    .uniform_work_group_size: 1
    .uses_dynamic_stack: false
    .vgpr_count:     64
    .vgpr_spill_count: 7
    .wavefront_size: 64
amdhsa.target:   amdgcn-amd-amdhsa--gfx906
amdhsa.version:
  - 1
  - 2
...

	.end_amdgpu_metadata
